;; amdgpu-corpus repo=ROCm/rocFFT kind=compiled arch=gfx950 opt=O3
	.text
	.amdgcn_target "amdgcn-amd-amdhsa--gfx950"
	.amdhsa_code_object_version 6
	.protected	bluestein_single_fwd_len374_dim1_dp_op_CI_CI ; -- Begin function bluestein_single_fwd_len374_dim1_dp_op_CI_CI
	.globl	bluestein_single_fwd_len374_dim1_dp_op_CI_CI
	.p2align	8
	.type	bluestein_single_fwd_len374_dim1_dp_op_CI_CI,@function
bluestein_single_fwd_len374_dim1_dp_op_CI_CI: ; @bluestein_single_fwd_len374_dim1_dp_op_CI_CI
; %bb.0:
	s_load_dwordx4 s[8:11], s[0:1], 0x28
	v_mul_u32_u24_e32 v1, 0x788, v0
	v_lshrrev_b32_e32 v2, 16, v1
	v_mad_u64_u32 v[4:5], s[2:3], s2, 7, v[2:3]
	v_mov_b32_e32 v145, 0
	v_mov_b32_e32 v5, v145
	s_waitcnt lgkmcnt(0)
	v_cmp_gt_u64_e32 vcc, s[8:9], v[4:5]
	s_and_saveexec_b64 s[2:3], vcc
	s_cbranch_execz .LBB0_23
; %bb.1:
	v_mul_lo_u16_e32 v1, 34, v2
	s_mov_b32 s2, 0x24924925
	v_sub_u16_e32 v144, v0, v1
	v_mul_hi_u32 v0, v4, s2
	v_sub_u32_e32 v1, v4, v0
	v_lshrrev_b32_e32 v1, 1, v1
	v_add_u32_e32 v0, v1, v0
	s_load_dwordx2 s[8:9], s[0:1], 0x0
	s_load_dwordx2 s[12:13], s[0:1], 0x38
	v_lshrrev_b32_e32 v0, 2, v0
	v_mul_lo_u32 v0, v0, 7
	v_sub_u32_e32 v0, v4, v0
	v_mul_u32_u24_e32 v152, 0x176, v0
	v_accvgpr_write_b32 a2, v4
	v_cmp_gt_u16_e32 vcc, 22, v144
	v_lshlrev_b32_e32 v186, 4, v144
	v_lshlrev_b32_e32 v187, 4, v152
	s_and_saveexec_b64 s[14:15], vcc
	s_cbranch_execz .LBB0_3
; %bb.2:
	s_load_dwordx2 s[2:3], s[0:1], 0x18
	v_accvgpr_read_b32 v10, a2
	v_mov_b32_e32 v0, s10
	v_mov_b32_e32 v1, s11
	;; [unrolled: 1-line block ×3, first 2 shown]
	s_waitcnt lgkmcnt(0)
	s_load_dwordx4 s[4:7], s[2:3], 0x0
	v_mov_b32_e32 v58, v187
	v_mov_b32_e32 v187, 0
	v_lshl_add_u32 v56, v144, 4, v58
	v_lshl_add_u64 v[74:75], s[8:9], 0, v[186:187]
	s_waitcnt lgkmcnt(0)
	v_mad_u64_u32 v[2:3], s[2:3], s6, v10, 0
	v_mad_u64_u32 v[4:5], s[2:3], s4, v144, 0
	v_mov_b32_e32 v6, v3
	v_mov_b32_e32 v8, v5
	v_mad_u64_u32 v[6:7], s[2:3], s7, v10, v[6:7]
	v_mov_b32_e32 v3, v6
	v_mad_u64_u32 v[6:7], s[2:3], s5, v144, v[8:9]
	v_mov_b32_e32 v5, v6
	v_lshl_add_u64 v[52:53], v[2:3], 4, v[0:1]
	v_lshl_add_u64 v[54:55], v[4:5], 4, v[52:53]
	global_load_dwordx4 v[0:3], v186, s[8:9]
	global_load_dwordx4 v[4:7], v[54:55], off
	s_mul_i32 s7, s5, 0x160
	v_mad_u64_u32 v[54:55], s[2:3], s4, v57, v[54:55]
	v_add_u32_e32 v55, s7, v55
	global_load_dwordx4 v[8:11], v186, s[8:9] offset:352
	global_load_dwordx4 v[12:15], v186, s[8:9] offset:704
	global_load_dwordx4 v[16:19], v186, s[8:9] offset:1056
	global_load_dwordx4 v[20:23], v186, s[8:9] offset:1408
	global_load_dwordx4 v[24:27], v186, s[8:9] offset:1760
	global_load_dwordx4 v[28:31], v186, s[8:9] offset:2112
	global_load_dwordx4 v[32:35], v186, s[8:9] offset:2464
	global_load_dwordx4 v[36:39], v186, s[8:9] offset:2816
	global_load_dwordx4 v[40:43], v186, s[8:9] offset:3168
	global_load_dwordx4 v[44:47], v186, s[8:9] offset:3520
	global_load_dwordx4 v[48:51], v186, s[8:9] offset:3872
	v_mov_b32_e32 v187, v58
	global_load_dwordx4 v[58:61], v[54:55], off
	v_mad_u64_u32 v[54:55], s[2:3], s4, v57, v[54:55]
	v_add_u32_e32 v55, s7, v55
	global_load_dwordx4 v[62:65], v[54:55], off
	v_mad_u64_u32 v[54:55], s[2:3], s4, v57, v[54:55]
	v_add_u32_e32 v55, s7, v55
	v_mad_u64_u32 v[76:77], s[2:3], s4, v57, v[54:55]
	s_movk_i32 s6, 0x1000
	v_add_u32_e32 v77, s7, v77
	global_load_dwordx4 v[66:69], v[54:55], off
	global_load_dwordx4 v[70:73], v[76:77], off
	v_add_co_u32_e64 v54, s[2:3], s6, v74
	v_or_b32_e32 v142, 0x160, v144
	s_nop 0
	v_addc_co_u32_e64 v55, s[2:3], 0, v75, s[2:3]
	v_mad_u64_u32 v[82:83], s[2:3], s4, v57, v[76:77]
	v_add_u32_e32 v83, s7, v83
	v_mad_u64_u32 v[86:87], s[2:3], s4, v57, v[82:83]
	v_add_u32_e32 v87, s7, v87
	v_mad_u64_u32 v[90:91], s[2:3], s4, v57, v[86:87]
	v_lshlrev_b32_e32 v84, 4, v142
	global_load_dwordx4 v[74:77], v[82:83], off
	global_load_dwordx4 v[78:81], v84, s[8:9]
	v_add_u32_e32 v91, s7, v91
	global_load_dwordx4 v[82:85], v[86:87], off
	v_mad_u64_u32 v[94:95], s[2:3], s4, v57, v[90:91]
	v_add_u32_e32 v95, s7, v95
	global_load_dwordx4 v[86:89], v[90:91], off
	v_mad_u64_u32 v[98:99], s[2:3], s4, v57, v[94:95]
	;; [unrolled: 3-line block ×6, first 2 shown]
	v_add_u32_e32 v113, s7, v113
	global_load_dwordx4 v[106:109], v[110:111], off
	global_load_dwordx4 v[114:117], v[54:55], off offset:128
	global_load_dwordx4 v[118:121], v[112:113], off
	global_load_dwordx4 v[122:125], v[54:55], off offset:480
	v_mad_u64_u32 v[112:113], s[2:3], s4, v57, v[112:113]
	v_add_u32_e32 v113, s7, v113
	global_load_dwordx4 v[126:129], v[112:113], off
	v_mad_u64_u32 v[112:113], s[2:3], s4, v57, v[112:113]
	v_add_u32_e32 v113, s7, v113
	global_load_dwordx4 v[130:133], v[54:55], off offset:832
	global_load_dwordx4 v[134:137], v[112:113], off
	global_load_dwordx4 v[138:141], v[54:55], off offset:1184
	v_mad_u64_u32 v[54:55], s[2:3], s4, v142, 0
	v_mov_b32_e32 v112, v55
	v_mad_u64_u32 v[112:113], s[2:3], s5, v142, v[112:113]
	v_mov_b32_e32 v55, v112
	v_lshl_add_u64 v[52:53], v[54:55], 4, v[52:53]
	global_load_dwordx4 v[52:55], v[52:53], off
	s_waitcnt vmcnt(32)
	v_mul_f64 v[110:111], v[6:7], v[2:3]
	v_mul_f64 v[2:3], v[4:5], v[2:3]
	v_fmac_f64_e32 v[110:111], v[4:5], v[0:1]
	v_fma_f64 v[112:113], v[6:7], v[0:1], -v[2:3]
	v_add_u32_e32 v4, v187, v186
	ds_write_b128 v56, v[110:113]
	s_waitcnt vmcnt(20)
	v_mul_f64 v[0:1], v[60:61], v[10:11]
	v_mul_f64 v[2:3], v[58:59], v[10:11]
	v_fmac_f64_e32 v[0:1], v[58:59], v[8:9]
	v_fma_f64 v[2:3], v[60:61], v[8:9], -v[2:3]
	ds_write_b128 v4, v[0:3] offset:352
	s_waitcnt vmcnt(19)
	v_mul_f64 v[0:1], v[64:65], v[14:15]
	v_mul_f64 v[2:3], v[62:63], v[14:15]
	v_fmac_f64_e32 v[0:1], v[62:63], v[12:13]
	v_fma_f64 v[2:3], v[64:65], v[12:13], -v[2:3]
	ds_write_b128 v4, v[0:3] offset:704
	;; [unrolled: 6-line block ×16, first 2 shown]
.LBB0_3:
	s_or_b64 exec, exec, s[14:15]
	v_accvgpr_write_b32 a0, v144
	v_accvgpr_write_b32 a1, v145
	s_waitcnt lgkmcnt(0)
	s_barrier
	s_waitcnt lgkmcnt(0)
                                        ; implicit-def: $vgpr20_vgpr21
                                        ; implicit-def: $vgpr24_vgpr25
                                        ; implicit-def: $vgpr28_vgpr29
                                        ; implicit-def: $vgpr32_vgpr33
                                        ; implicit-def: $vgpr36_vgpr37
                                        ; implicit-def: $vgpr40_vgpr41
                                        ; implicit-def: $vgpr44_vgpr45
                                        ; implicit-def: $vgpr48_vgpr49
                                        ; implicit-def: $vgpr52_vgpr53
                                        ; implicit-def: $vgpr56_vgpr57
                                        ; implicit-def: $vgpr60_vgpr61
                                        ; implicit-def: $vgpr64_vgpr65
                                        ; implicit-def: $vgpr68_vgpr69
                                        ; implicit-def: $vgpr72_vgpr73
                                        ; implicit-def: $vgpr76_vgpr77
                                        ; implicit-def: $vgpr80_vgpr81
                                        ; implicit-def: $vgpr84_vgpr85
	s_and_saveexec_b64 s[2:3], vcc
	s_cbranch_execz .LBB0_5
; %bb.4:
	v_lshl_add_u32 v0, v152, 4, v186
	ds_read_b128 v[20:23], v0
	ds_read_b128 v[24:27], v0 offset:352
	ds_read_b128 v[28:31], v0 offset:704
	;; [unrolled: 1-line block ×16, first 2 shown]
.LBB0_5:
	s_or_b64 exec, exec, s[2:3]
	s_mov_b32 s30, 0x5d8e7cdc
	s_waitcnt lgkmcnt(0)
	v_add_f64 v[96:97], v[26:27], -v[86:87]
	s_mov_b32 s2, 0x370991
	s_mov_b32 s31, 0xbfd71e95
	;; [unrolled: 1-line block ×3, first 2 shown]
	v_add_f64 v[128:129], v[24:25], v[84:85]
	v_add_f64 v[100:101], v[24:25], -v[84:85]
	s_mov_b32 s3, 0x3fedd6d0
	v_mul_f64 v[136:137], v[96:97], s[30:31]
	s_mov_b32 s14, 0x75d4884
	s_mov_b32 s35, 0xbfe58eea
	v_add_f64 v[98:99], v[30:31], -v[82:83]
	v_add_f64 v[132:133], v[26:27], v[86:87]
	v_mul_f64 v[138:139], v[100:101], s[30:31]
	v_fma_f64 v[0:1], s[2:3], v[128:129], v[136:137]
	s_mov_b32 s15, 0x3fe7a5f6
	s_mov_b32 s38, 0x7c9e640b
	v_add_f64 v[140:141], v[28:29], v[80:81]
	v_add_f64 v[102:103], v[28:29], -v[80:81]
	v_mul_f64 v[144:145], v[98:99], s[34:35]
	v_add_f64 v[0:1], v[20:21], v[0:1]
	v_fma_f64 v[2:3], v[132:133], s[2:3], -v[138:139]
	s_mov_b32 s4, 0x2b2883cd
	s_mov_b32 s39, 0xbfeca52d
	v_add_f64 v[142:143], v[30:31], v[82:83]
	v_mul_f64 v[154:155], v[102:103], s[34:35]
	v_fma_f64 v[4:5], s[14:15], v[140:141], v[144:145]
	v_add_f64 v[106:107], v[34:35], -v[78:79]
	v_add_f64 v[2:3], v[22:23], v[2:3]
	s_mov_b32 s5, 0x3fdc86fa
	s_mov_b32 s26, 0xeb564b22
	v_add_f64 v[0:1], v[4:5], v[0:1]
	v_fma_f64 v[4:5], v[142:143], s[14:15], -v[154:155]
	v_add_f64 v[148:149], v[32:33], v[76:77]
	v_add_f64 v[104:105], v[32:33], -v[76:77]
	v_mul_f64 v[160:161], v[106:107], s[38:39]
	s_mov_b32 s16, 0x3259b75e
	s_mov_b32 s27, 0xbfefdd0d
	v_add_f64 v[2:3], v[4:5], v[2:3]
	v_add_f64 v[150:151], v[34:35], v[78:79]
	v_mul_f64 v[166:167], v[104:105], s[38:39]
	v_fma_f64 v[4:5], s[4:5], v[148:149], v[160:161]
	v_add_f64 v[110:111], v[38:39], -v[74:75]
	s_mov_b32 s17, 0x3fb79ee6
	s_mov_b32 s28, 0x923c349f
	v_add_f64 v[0:1], v[4:5], v[0:1]
	v_fma_f64 v[4:5], v[150:151], s[4:5], -v[166:167]
	v_add_f64 v[156:157], v[36:37], v[72:73]
	v_add_f64 v[108:109], v[36:37], -v[72:73]
	v_mul_f64 v[174:175], v[110:111], s[26:27]
	s_mov_b32 s6, 0xc61f0d01
	s_mov_b32 s29, 0xbfeec746
	v_add_f64 v[2:3], v[4:5], v[2:3]
	v_add_f64 v[158:159], v[38:39], v[74:75]
	v_mul_f64 v[182:183], v[108:109], s[26:27]
	v_fma_f64 v[4:5], s[16:17], v[156:157], v[174:175]
	v_add_f64 v[114:115], v[42:43], -v[70:71]
	s_mov_b32 s7, 0xbfd183b1
	v_add_f64 v[0:1], v[4:5], v[0:1]
	v_fma_f64 v[4:5], v[158:159], s[16:17], -v[182:183]
	v_add_f64 v[162:163], v[40:41], v[68:69]
	v_add_f64 v[112:113], v[40:41], -v[68:69]
	v_mul_f64 v[190:191], v[114:115], s[28:29]
	s_mov_b32 s36, 0x6c9a05f6
	v_add_f64 v[2:3], v[4:5], v[2:3]
	v_add_f64 v[164:165], v[42:43], v[70:71]
	v_mul_f64 v[6:7], v[112:113], s[28:29]
	v_fma_f64 v[4:5], s[6:7], v[162:163], v[190:191]
	s_mov_b32 s37, 0xbfe9895b
	v_add_f64 v[0:1], v[4:5], v[0:1]
	v_fma_f64 v[4:5], v[164:165], s[6:7], -v[6:7]
	v_add_f64 v[146:147], v[46:47], -v[66:67]
	s_mov_b32 s18, 0x6ed5f1bb
	v_add_f64 v[2:3], v[4:5], v[2:3]
	v_mul_f64 v[4:5], v[146:147], s[36:37]
	s_mov_b32 s19, 0xbfe348c8
	v_accvgpr_write_b32 a27, v7
	v_add_f64 v[170:171], v[44:45], v[64:65]
	v_add_f64 v[126:127], v[44:45], -v[64:65]
	v_accvgpr_write_b32 a29, v5
	s_mov_b32 s40, 0x4363dd80
	v_accvgpr_write_b32 a26, v6
	v_add_f64 v[172:173], v[46:47], v[66:67]
	v_mul_f64 v[6:7], v[126:127], s[36:37]
	v_accvgpr_write_b32 a28, v4
	v_fma_f64 v[4:5], s[18:19], v[170:171], v[4:5]
	s_mov_b32 s41, 0xbfe0d888
	v_add_f64 v[0:1], v[4:5], v[0:1]
	v_fma_f64 v[4:5], v[172:173], s[18:19], -v[6:7]
	v_add_f64 v[180:181], v[50:51], -v[62:63]
	s_mov_b32 s20, 0x910ea3b9
	v_add_f64 v[2:3], v[4:5], v[2:3]
	v_mul_f64 v[4:5], v[180:181], s[40:41]
	s_mov_b32 s21, 0xbfeb34fa
	v_accvgpr_write_b32 a31, v7
	v_add_f64 v[176:177], v[48:49], v[60:61]
	v_add_f64 v[168:169], v[48:49], -v[60:61]
	v_accvgpr_write_b32 a33, v5
	s_mov_b32 s42, 0xacd6c6b4
	v_accvgpr_write_b32 a30, v6
	v_add_f64 v[178:179], v[50:51], v[62:63]
	v_mul_f64 v[6:7], v[168:169], s[40:41]
	v_accvgpr_write_b32 a32, v4
	v_fma_f64 v[4:5], s[20:21], v[176:177], v[4:5]
	s_mov_b32 s43, 0xbfc7851a
	v_add_f64 v[0:1], v[4:5], v[0:1]
	v_fma_f64 v[4:5], v[178:179], s[20:21], -v[6:7]
	v_add_f64 v[206:207], v[54:55], -v[58:59]
	s_mov_b32 s22, 0x7faef3
	v_add_f64 v[2:3], v[4:5], v[2:3]
	v_mul_f64 v[4:5], v[206:207], s[42:43]
	s_mov_b32 s23, 0xbfef7484
	v_add_f64 v[196:197], v[52:53], v[56:57]
	v_accvgpr_write_b32 a37, v5
	v_accvgpr_write_b32 a36, v4
	v_fma_f64 v[4:5], s[22:23], v[196:197], v[4:5]
	v_add_f64 v[202:203], v[52:53], -v[56:57]
	v_add_f64 v[4:5], v[4:5], v[0:1]
	v_mul_f64 v[0:1], v[202:203], s[42:43]
	v_add_f64 v[204:205], v[54:55], v[58:59]
	v_accvgpr_write_b32 a39, v1
	v_accvgpr_write_b32 a35, v7
	;; [unrolled: 1-line block ×3, first 2 shown]
	v_fma_f64 v[0:1], v[204:205], s[22:23], -v[0:1]
	v_accvgpr_write_b32 a34, v6
	v_add_f64 v[6:7], v[0:1], v[2:3]
	v_mul_f64 v[0:1], v[96:97], s[34:35]
	v_accvgpr_write_b32 a41, v1
	v_mul_f64 v[2:3], v[98:99], s[26:27]
	v_accvgpr_write_b32 a40, v0
	v_fma_f64 v[0:1], s[14:15], v[128:129], v[0:1]
	v_accvgpr_write_b32 a43, v3
	v_add_f64 v[0:1], v[20:21], v[0:1]
	v_accvgpr_write_b32 a42, v2
	v_fma_f64 v[2:3], s[16:17], v[140:141], v[2:3]
	v_accvgpr_write_b32 a4, v4
	v_add_f64 v[0:1], v[2:3], v[0:1]
	v_mul_f64 v[2:3], v[100:101], s[34:35]
	v_accvgpr_write_b32 a5, v5
	v_accvgpr_write_b32 a6, v6
	;; [unrolled: 1-line block ×4, first 2 shown]
	v_mul_f64 v[4:5], v[102:103], s[26:27]
	v_accvgpr_write_b32 a48, v2
	v_fma_f64 v[2:3], v[132:133], s[14:15], -v[2:3]
	v_accvgpr_write_b32 a51, v5
	v_add_f64 v[2:3], v[22:23], v[2:3]
	v_accvgpr_write_b32 a50, v4
	v_fma_f64 v[4:5], v[142:143], s[16:17], -v[4:5]
	v_add_f64 v[2:3], v[4:5], v[2:3]
	v_mul_f64 v[4:5], v[106:107], s[36:37]
	v_accvgpr_write_b32 a45, v5
	v_accvgpr_write_b32 a44, v4
	v_fma_f64 v[4:5], s[18:19], v[148:149], v[4:5]
	v_add_f64 v[0:1], v[4:5], v[0:1]
	v_mul_f64 v[4:5], v[104:105], s[36:37]
	v_accvgpr_write_b32 a55, v5
	v_accvgpr_write_b32 a54, v4
	v_fma_f64 v[4:5], v[150:151], s[18:19], -v[4:5]
	v_add_f64 v[2:3], v[4:5], v[2:3]
	v_mul_f64 v[4:5], v[110:111], s[42:43]
	v_accvgpr_write_b32 a47, v5
	v_accvgpr_write_b32 a46, v4
	v_fma_f64 v[4:5], s[22:23], v[156:157], v[4:5]
	v_add_f64 v[0:1], v[4:5], v[0:1]
	v_mul_f64 v[4:5], v[108:109], s[42:43]
	v_accvgpr_write_b32 a59, v5
	v_accvgpr_write_b32 a58, v4
	v_fma_f64 v[4:5], v[158:159], s[22:23], -v[4:5]
	s_mov_b32 s53, 0x3fe0d888
	s_mov_b32 s52, s40
	v_add_f64 v[2:3], v[4:5], v[2:3]
	v_mul_f64 v[4:5], v[114:115], s[52:53]
	v_accvgpr_write_b32 a53, v5
	v_accvgpr_write_b32 a52, v4
	v_fma_f64 v[4:5], s[20:21], v[162:163], v[4:5]
	v_add_f64 v[0:1], v[4:5], v[0:1]
	v_mul_f64 v[4:5], v[112:113], s[52:53]
	v_accvgpr_write_b32 a63, v5
	v_accvgpr_write_b32 a62, v4
	v_fma_f64 v[4:5], v[164:165], s[20:21], -v[4:5]
	s_mov_b32 s51, 0x3feec746
	s_mov_b32 s50, s28
	;; [unrolled: 12-line block ×4, first 2 shown]
	v_add_f64 v[2:3], v[4:5], v[2:3]
	v_mul_f64 v[4:5], v[206:207], s[46:47]
	v_accvgpr_write_b32 a65, v5
	v_accvgpr_write_b32 a64, v4
	v_fma_f64 v[4:5], s[2:3], v[196:197], v[4:5]
	v_add_f64 v[4:5], v[4:5], v[0:1]
	v_mul_f64 v[0:1], v[202:203], s[46:47]
	v_accvgpr_write_b32 a71, v1
	v_accvgpr_write_b32 a70, v0
	v_fma_f64 v[0:1], v[204:205], s[2:3], -v[0:1]
	v_add_f64 v[6:7], v[0:1], v[2:3]
	v_mul_f64 v[0:1], v[96:97], s[38:39]
	v_accvgpr_write_b32 a73, v1
	v_mul_f64 v[2:3], v[98:99], s[36:37]
	v_accvgpr_write_b32 a72, v0
	v_fma_f64 v[0:1], s[4:5], v[128:129], v[0:1]
	v_accvgpr_write_b32 a75, v3
	v_add_f64 v[0:1], v[20:21], v[0:1]
	v_accvgpr_write_b32 a74, v2
	v_fma_f64 v[2:3], s[18:19], v[140:141], v[2:3]
	v_accvgpr_write_b32 a11, v7
	v_add_f64 v[0:1], v[2:3], v[0:1]
	v_mul_f64 v[2:3], v[100:101], s[38:39]
	v_accvgpr_write_b32 a10, v6
	v_accvgpr_write_b32 a9, v5
	;; [unrolled: 1-line block ×4, first 2 shown]
	v_mul_f64 v[4:5], v[102:103], s[36:37]
	v_accvgpr_write_b32 a86, v2
	v_fma_f64 v[2:3], v[132:133], s[4:5], -v[2:3]
	v_accvgpr_write_b32 a89, v5
	v_add_f64 v[2:3], v[22:23], v[2:3]
	v_accvgpr_write_b32 a88, v4
	v_fma_f64 v[4:5], v[142:143], s[18:19], -v[4:5]
	s_mov_b32 s55, 0x3fc7851a
	s_mov_b32 s54, s42
	v_add_f64 v[2:3], v[4:5], v[2:3]
	v_mul_f64 v[4:5], v[106:107], s[54:55]
	v_accvgpr_write_b32 a77, v5
	v_accvgpr_write_b32 a76, v4
	v_fma_f64 v[4:5], s[22:23], v[148:149], v[4:5]
	v_add_f64 v[0:1], v[4:5], v[0:1]
	v_mul_f64 v[4:5], v[104:105], s[54:55]
	v_accvgpr_write_b32 a93, v5
	v_accvgpr_write_b32 a92, v4
	v_fma_f64 v[4:5], v[150:151], s[22:23], -v[4:5]
	v_add_f64 v[2:3], v[4:5], v[2:3]
	v_mul_f64 v[4:5], v[110:111], s[50:51]
	v_accvgpr_write_b32 a79, v5
	v_accvgpr_write_b32 a78, v4
	v_fma_f64 v[4:5], s[6:7], v[156:157], v[4:5]
	v_add_f64 v[0:1], v[4:5], v[0:1]
	v_mul_f64 v[4:5], v[108:109], s[50:51]
	v_accvgpr_write_b32 a95, v5
	v_accvgpr_write_b32 a94, v4
	v_fma_f64 v[4:5], v[158:159], s[6:7], -v[4:5]
	s_mov_b32 s49, 0x3fe58eea
	s_mov_b32 s48, s34
	v_add_f64 v[2:3], v[4:5], v[2:3]
	v_mul_f64 v[4:5], v[114:115], s[48:49]
	v_accvgpr_write_b32 a81, v5
	v_accvgpr_write_b32 a80, v4
	v_fma_f64 v[4:5], s[14:15], v[162:163], v[4:5]
	v_add_f64 v[0:1], v[4:5], v[0:1]
	v_mul_f64 v[4:5], v[112:113], s[48:49]
	v_accvgpr_write_b32 a97, v5
	v_accvgpr_write_b32 a96, v4
	v_fma_f64 v[4:5], v[164:165], s[14:15], -v[4:5]
	v_add_f64 v[2:3], v[4:5], v[2:3]
	v_mul_f64 v[4:5], v[146:147], s[30:31]
	v_accvgpr_write_b32 a83, v5
	v_accvgpr_write_b32 a82, v4
	v_fma_f64 v[4:5], s[2:3], v[170:171], v[4:5]
	v_add_f64 v[0:1], v[4:5], v[0:1]
	v_mul_f64 v[4:5], v[126:127], s[30:31]
	v_accvgpr_write_b32 a99, v5
	v_accvgpr_write_b32 a98, v4
	v_fma_f64 v[4:5], v[172:173], s[2:3], -v[4:5]
	v_add_f64 v[2:3], v[4:5], v[2:3]
	v_mul_f64 v[4:5], v[180:181], s[26:27]
	v_accvgpr_write_b32 a85, v5
	v_accvgpr_write_b32 a84, v4
	v_fma_f64 v[4:5], s[16:17], v[176:177], v[4:5]
	v_add_f64 v[0:1], v[4:5], v[0:1]
	v_mul_f64 v[4:5], v[168:169], s[26:27]
	v_accvgpr_write_b32 a101, v5
	v_accvgpr_write_b32 a100, v4
	v_fma_f64 v[4:5], v[178:179], s[16:17], -v[4:5]
	v_add_f64 v[2:3], v[4:5], v[2:3]
	v_mul_f64 v[4:5], v[206:207], s[40:41]
	v_accvgpr_write_b32 a91, v5
	v_accvgpr_write_b32 a90, v4
	v_fma_f64 v[4:5], s[20:21], v[196:197], v[4:5]
	v_add_f64 v[4:5], v[4:5], v[0:1]
	v_mul_f64 v[0:1], v[202:203], s[40:41]
	v_accvgpr_write_b32 a103, v1
	v_accvgpr_write_b32 a102, v0
	v_fma_f64 v[0:1], v[204:205], s[20:21], -v[0:1]
	v_add_f64 v[6:7], v[0:1], v[2:3]
	v_mul_f64 v[0:1], v[96:97], s[26:27]
	v_accvgpr_write_b32 a105, v1
	v_mul_f64 v[2:3], v[98:99], s[42:43]
	v_accvgpr_write_b32 a104, v0
	v_fma_f64 v[0:1], s[16:17], v[128:129], v[0:1]
	v_accvgpr_write_b32 a107, v3
	v_add_f64 v[0:1], v[20:21], v[0:1]
	v_accvgpr_write_b32 a106, v2
	v_fma_f64 v[2:3], s[22:23], v[140:141], v[2:3]
	v_accvgpr_write_b32 a15, v7
	v_add_f64 v[0:1], v[2:3], v[0:1]
	v_mul_f64 v[2:3], v[100:101], s[26:27]
	v_accvgpr_write_b32 a14, v6
	v_accvgpr_write_b32 a13, v5
	v_accvgpr_write_b32 a12, v4
	v_accvgpr_write_b32 a113, v3
	v_mul_f64 v[4:5], v[102:103], s[42:43]
	v_accvgpr_write_b32 a112, v2
	v_fma_f64 v[2:3], v[132:133], s[16:17], -v[2:3]
	v_accvgpr_write_b32 a117, v5
	v_add_f64 v[2:3], v[22:23], v[2:3]
	v_accvgpr_write_b32 a116, v4
	v_fma_f64 v[4:5], v[142:143], s[22:23], -v[4:5]
	v_add_f64 v[2:3], v[4:5], v[2:3]
	v_mul_f64 v[4:5], v[106:107], s[50:51]
	v_accvgpr_write_b32 a109, v5
	v_accvgpr_write_b32 a108, v4
	v_fma_f64 v[4:5], s[6:7], v[148:149], v[4:5]
	v_add_f64 v[0:1], v[4:5], v[0:1]
	v_mul_f64 v[4:5], v[104:105], s[50:51]
	v_accvgpr_write_b32 a121, v5
	v_accvgpr_write_b32 a120, v4
	v_fma_f64 v[4:5], v[150:151], s[6:7], -v[4:5]
	v_add_f64 v[2:3], v[4:5], v[2:3]
	v_mul_f64 v[4:5], v[110:111], s[46:47]
	v_accvgpr_write_b32 a111, v5
	v_accvgpr_write_b32 a110, v4
	v_fma_f64 v[4:5], s[2:3], v[156:157], v[4:5]
	v_add_f64 v[0:1], v[4:5], v[0:1]
	v_mul_f64 v[4:5], v[108:109], s[46:47]
	v_accvgpr_write_b32 a125, v5
	;; [unrolled: 10-line block ×4, first 2 shown]
	v_accvgpr_write_b32 a130, v4
	v_fma_f64 v[4:5], v[172:173], s[20:21], -v[4:5]
	s_mov_b32 s59, 0x3fe9895b
	s_mov_b32 s58, s36
	v_add_f64 v[2:3], v[4:5], v[2:3]
	v_mul_f64 v[4:5], v[180:181], s[58:59]
	v_accvgpr_write_b32 a123, v5
	v_accvgpr_write_b32 a122, v4
	v_fma_f64 v[4:5], s[18:19], v[176:177], v[4:5]
	v_add_f64 v[0:1], v[4:5], v[0:1]
	v_mul_f64 v[4:5], v[168:169], s[58:59]
	v_accvgpr_write_b32 a133, v5
	v_accvgpr_write_b32 a132, v4
	v_fma_f64 v[4:5], v[178:179], s[18:19], -v[4:5]
	v_add_f64 v[2:3], v[4:5], v[2:3]
	v_mul_f64 v[4:5], v[206:207], s[48:49]
	v_accvgpr_write_b32 a127, v5
	v_accvgpr_write_b32 a126, v4
	v_fma_f64 v[4:5], s[14:15], v[196:197], v[4:5]
	v_add_f64 v[4:5], v[4:5], v[0:1]
	v_mul_f64 v[0:1], v[202:203], s[48:49]
	v_accvgpr_write_b32 a135, v1
	v_accvgpr_write_b32 a134, v0
	v_fma_f64 v[0:1], v[204:205], s[14:15], -v[0:1]
	v_add_f64 v[6:7], v[0:1], v[2:3]
	v_mul_f64 v[0:1], v[96:97], s[28:29]
	v_accvgpr_write_b32 a137, v1
	v_mul_f64 v[2:3], v[98:99], s[52:53]
	v_accvgpr_write_b32 a136, v0
	v_fma_f64 v[0:1], s[6:7], v[128:129], v[0:1]
	v_accvgpr_write_b32 a139, v3
	v_add_f64 v[0:1], v[20:21], v[0:1]
	v_accvgpr_write_b32 a138, v2
	v_fma_f64 v[2:3], s[20:21], v[140:141], v[2:3]
	v_mul_f64 v[198:199], v[100:101], s[28:29]
	v_accvgpr_write_b32 a19, v7
	v_add_f64 v[0:1], v[2:3], v[0:1]
	v_fma_f64 v[2:3], v[132:133], s[6:7], -v[198:199]
	v_mul_f64 v[208:209], v[102:103], s[52:53]
	v_accvgpr_write_b32 a18, v6
	v_accvgpr_write_b32 a17, v5
	;; [unrolled: 1-line block ×3, first 2 shown]
	v_add_f64 v[2:3], v[22:23], v[2:3]
	v_fma_f64 v[4:5], v[142:143], s[20:21], -v[208:209]
	v_mul_f64 v[192:193], v[106:107], s[48:49]
	v_add_f64 v[2:3], v[4:5], v[2:3]
	v_fma_f64 v[4:5], s[14:15], v[148:149], v[192:193]
	v_mul_f64 v[212:213], v[104:105], s[48:49]
	v_add_f64 v[0:1], v[4:5], v[0:1]
	v_fma_f64 v[4:5], v[150:151], s[14:15], -v[212:213]
	v_mul_f64 v[194:195], v[110:111], s[38:39]
	v_add_f64 v[2:3], v[4:5], v[2:3]
	v_fma_f64 v[4:5], s[4:5], v[156:157], v[194:195]
	v_mul_f64 v[216:217], v[108:109], s[38:39]
	v_add_f64 v[0:1], v[4:5], v[0:1]
	v_fma_f64 v[4:5], v[158:159], s[4:5], -v[216:217]
	v_mul_f64 v[200:201], v[114:115], s[42:43]
	v_add_f64 v[2:3], v[4:5], v[2:3]
	v_fma_f64 v[4:5], s[22:23], v[162:163], v[200:201]
	v_mul_f64 v[220:221], v[112:113], s[42:43]
	s_mov_b32 s57, 0x3fefdd0d
	s_mov_b32 s56, s26
	v_add_f64 v[0:1], v[4:5], v[0:1]
	v_fma_f64 v[4:5], v[164:165], s[22:23], -v[220:221]
	v_mul_f64 v[210:211], v[146:147], s[56:57]
	v_add_f64 v[2:3], v[4:5], v[2:3]
	v_fma_f64 v[4:5], s[16:17], v[170:171], v[210:211]
	v_mul_f64 v[184:185], v[126:127], s[56:57]
	v_add_f64 v[0:1], v[4:5], v[0:1]
	v_fma_f64 v[4:5], v[172:173], s[16:17], -v[184:185]
	v_mul_f64 v[214:215], v[180:181], s[30:31]
	v_add_f64 v[2:3], v[4:5], v[2:3]
	v_fma_f64 v[4:5], s[2:3], v[176:177], v[214:215]
	v_mul_f64 v[222:223], v[168:169], s[30:31]
	;; [unrolled: 6-line block ×4, first 2 shown]
	v_add_f64 v[0:1], v[20:21], v[0:1]
	v_fma_f64 v[2:3], s[6:7], v[140:141], v[228:229]
	v_mul_f64 v[234:235], v[100:101], s[36:37]
	v_accvgpr_write_b32 a23, v7
	v_add_f64 v[0:1], v[2:3], v[0:1]
	v_fma_f64 v[2:3], v[132:133], s[18:19], -v[234:235]
	v_mul_f64 v[238:239], v[102:103], s[50:51]
	v_accvgpr_write_b32 a22, v6
	v_accvgpr_write_b32 a21, v5
	;; [unrolled: 1-line block ×3, first 2 shown]
	v_add_f64 v[2:3], v[22:23], v[2:3]
	v_fma_f64 v[4:5], v[142:143], s[6:7], -v[238:239]
	v_mul_f64 v[230:231], v[106:107], s[30:31]
	v_add_f64 v[2:3], v[4:5], v[2:3]
	v_fma_f64 v[4:5], s[2:3], v[148:149], v[230:231]
	v_mul_f64 v[242:243], v[104:105], s[30:31]
	v_add_f64 v[0:1], v[4:5], v[0:1]
	v_fma_f64 v[4:5], v[150:151], s[2:3], -v[242:243]
	v_mul_f64 v[232:233], v[110:111], s[40:41]
	v_add_f64 v[2:3], v[4:5], v[2:3]
	v_fma_f64 v[4:5], s[20:21], v[156:157], v[232:233]
	v_mul_f64 v[246:247], v[108:109], s[40:41]
	;; [unrolled: 6-line block ×7, first 2 shown]
	v_add_f64 v[0:1], v[20:21], v[0:1]
	v_fma_f64 v[2:3], s[4:5], v[140:141], v[254:255]
	v_mul_f64 v[4:5], v[100:101], s[40:41]
	v_add_f64 v[2:3], v[2:3], v[0:1]
	v_fma_f64 v[0:1], v[132:133], s[20:21], -v[4:5]
	v_mul_f64 v[120:121], v[102:103], s[44:45]
	v_add_f64 v[0:1], v[22:23], v[0:1]
	v_fma_f64 v[6:7], v[142:143], s[4:5], -v[120:121]
	v_add_f64 v[6:7], v[6:7], v[0:1]
	v_mul_f64 v[0:1], v[106:107], s[26:27]
	v_fma_f64 v[8:9], s[16:17], v[148:149], v[0:1]
	v_mul_f64 v[10:11], v[104:105], s[26:27]
	v_add_f64 v[8:9], v[8:9], v[2:3]
	v_fma_f64 v[2:3], v[150:151], s[16:17], -v[10:11]
	v_add_f64 v[6:7], v[2:3], v[6:7]
	v_mul_f64 v[2:3], v[110:111], s[58:59]
	v_fma_f64 v[12:13], s[18:19], v[156:157], v[2:3]
	;; [unrolled: 6-line block ×3, first 2 shown]
	v_add_f64 v[16:17], v[14:15], v[8:9]
	v_mul_f64 v[14:15], v[112:113], s[30:31]
	v_fma_f64 v[8:9], v[164:165], s[2:3], -v[14:15]
	v_add_f64 v[12:13], v[8:9], v[12:13]
	v_mul_f64 v[8:9], v[146:147], s[42:43]
	v_fma_f64 v[18:19], s[22:23], v[170:171], v[8:9]
	v_mul_f64 v[130:131], v[126:127], s[42:43]
	v_add_f64 v[16:17], v[18:19], v[16:17]
	v_fma_f64 v[18:19], v[172:173], s[22:23], -v[130:131]
	v_mul_f64 v[122:123], v[180:181], s[48:49]
	v_add_f64 v[12:13], v[18:19], v[12:13]
	v_fma_f64 v[18:19], s[14:15], v[176:177], v[122:123]
	v_mul_f64 v[134:135], v[168:169], s[48:49]
	v_add_f64 v[16:17], v[18:19], v[16:17]
	v_fma_f64 v[18:19], v[178:179], s[14:15], -v[134:135]
	v_add_f64 v[18:19], v[18:19], v[12:13]
	v_mul_f64 v[12:13], v[206:207], s[28:29]
	v_fma_f64 v[88:89], s[6:7], v[196:197], v[12:13]
	v_add_f64 v[88:89], v[88:89], v[16:17]
	v_mul_f64 v[16:17], v[202:203], s[28:29]
	v_fma_f64 v[90:91], v[204:205], s[6:7], -v[16:17]
	s_load_dwordx2 s[24:25], s[0:1], 0x20
	s_load_dwordx2 s[10:11], s[0:1], 0x8
	v_add_f64 v[90:91], v[90:91], v[18:19]
	v_accvgpr_read_b32 v19, a1
	v_accvgpr_read_b32 v18, a0
	v_mul_lo_u16_e32 v18, 17, v18
	v_accvgpr_write_b32 a3, v18
	s_waitcnt lgkmcnt(0)
	s_barrier
	s_and_saveexec_b64 s[0:1], vcc
	s_cbranch_execz .LBB0_7
; %bb.6:
	v_mul_f64 v[18:19], v[132:133], s[22:23]
	v_accvgpr_write_b32 a141, v137
	v_accvgpr_write_b32 a147, v139
	;; [unrolled: 1-line block ×3, first 2 shown]
	v_fma_f64 v[136:137], s[54:55], v[100:101], v[18:19]
	v_accvgpr_write_b32 a146, v138
	v_mul_f64 v[138:139], v[142:143], s[2:3]
	v_accvgpr_write_b32 a142, v144
	v_add_f64 v[136:137], v[22:23], v[136:137]
	v_accvgpr_write_b32 a143, v145
	v_fma_f64 v[144:145], s[30:31], v[102:103], v[138:139]
	v_add_f64 v[136:137], v[144:145], v[136:137]
	v_mul_f64 v[144:145], v[150:151], s[20:21]
	v_accvgpr_write_b32 a24, v152
	v_fma_f64 v[152:153], s[52:53], v[104:105], v[144:145]
	v_add_f64 v[136:137], v[152:153], v[136:137]
	v_mul_f64 v[152:153], v[158:159], s[14:15]
	v_accvgpr_write_b32 a150, v154
	v_accvgpr_write_b32 a151, v155
	v_fma_f64 v[154:155], s[34:35], v[108:109], v[152:153]
	v_add_f64 v[136:137], v[154:155], v[136:137]
	v_mul_f64 v[154:155], v[164:165], s[18:19]
	v_accvgpr_write_b32 a144, v160
	;; [unrolled: 5-line block ×4, first 2 shown]
	v_accvgpr_write_b32 a154, v182
	v_accvgpr_write_b32 a149, v175
	v_fma_f64 v[174:175], s[50:51], v[168:169], v[166:167]
	v_accvgpr_write_b32 a155, v183
	v_mul_f64 v[182:183], v[96:97], s[42:43]
	v_add_f64 v[136:137], v[174:175], v[136:137]
	v_mul_f64 v[174:175], v[98:99], s[46:47]
	v_fma_f64 v[96:97], s[22:23], v[128:129], v[182:183]
	v_add_f64 v[96:97], v[20:21], v[96:97]
	v_fma_f64 v[98:99], s[2:3], v[140:141], v[174:175]
	v_mul_f64 v[106:107], v[106:107], s[40:41]
	v_fmac_f64_e32 v[138:139], s[46:47], v[102:103]
	v_fmac_f64_e32 v[18:19], s[42:43], v[100:101]
	v_fma_f64 v[102:103], v[128:129], s[22:23], -v[182:183]
	v_add_f64 v[96:97], v[98:99], v[96:97]
	v_fma_f64 v[98:99], s[20:21], v[148:149], v[106:107]
	v_mul_f64 v[110:111], v[110:111], s[48:49]
	v_add_f64 v[18:19], v[22:23], v[18:19]
	v_fma_f64 v[100:101], v[140:141], s[2:3], -v[174:175]
	v_add_f64 v[102:103], v[20:21], v[102:103]
	v_add_f64 v[96:97], v[98:99], v[96:97]
	v_fma_f64 v[98:99], s[14:15], v[156:157], v[110:111]
	v_mul_f64 v[114:115], v[114:115], s[36:37]
	v_fmac_f64_e32 v[144:145], s[40:41], v[104:105]
	v_add_f64 v[18:19], v[138:139], v[18:19]
	v_add_f64 v[100:101], v[100:101], v[102:103]
	v_fma_f64 v[102:103], v[148:149], s[20:21], -v[106:107]
	v_add_f64 v[96:97], v[98:99], v[96:97]
	v_fma_f64 v[98:99], s[18:19], v[162:163], v[114:115]
	v_mul_f64 v[146:147], v[146:147], s[44:45]
	v_fmac_f64_e32 v[152:153], s[48:49], v[108:109]
	v_add_f64 v[18:19], v[144:145], v[18:19]
	v_add_f64 v[100:101], v[102:103], v[100:101]
	v_fma_f64 v[102:103], v[156:157], s[14:15], -v[110:111]
	v_mul_f64 v[108:109], v[150:151], s[16:17]
	v_mul_f64 v[110:111], v[132:133], s[20:21]
	v_add_f64 v[96:97], v[98:99], v[96:97]
	v_fma_f64 v[98:99], s[4:5], v[170:171], v[146:147]
	v_mul_f64 v[180:181], v[180:181], s[28:29]
	v_accvgpr_write_b32 a156, v190
	v_fmac_f64_e32 v[154:155], s[36:37], v[112:113]
	v_add_f64 v[18:19], v[152:153], v[18:19]
	v_add_f64 v[10:11], v[10:11], v[108:109]
	v_mul_f64 v[108:109], v[142:143], s[4:5]
	v_add_f64 v[4:5], v[4:5], v[110:111]
	v_add_f64 v[96:97], v[98:99], v[96:97]
	v_fma_f64 v[98:99], s[6:7], v[176:177], v[180:181]
	v_accvgpr_write_b32 a157, v191
	v_mul_f64 v[190:191], v[204:205], s[16:17]
	v_fmac_f64_e32 v[160:161], s[44:45], v[126:127]
	v_add_f64 v[18:19], v[154:155], v[18:19]
	v_add_f64 v[100:101], v[102:103], v[100:101]
	v_fma_f64 v[102:103], v[162:163], s[18:19], -v[114:115]
	v_mul_f64 v[106:107], v[164:165], s[2:3]
	v_add_f64 v[108:109], v[120:121], v[108:109]
	v_add_f64 v[4:5], v[22:23], v[4:5]
	v_add_f64 v[96:97], v[98:99], v[96:97]
	v_fma_f64 v[98:99], s[26:27], v[202:203], v[190:191]
	v_fmac_f64_e32 v[166:167], s[28:29], v[168:169]
	v_add_f64 v[18:19], v[160:161], v[18:19]
	v_add_f64 v[100:101], v[102:103], v[100:101]
	v_fma_f64 v[102:103], v[170:171], s[4:5], -v[146:147]
	v_add_f64 v[14:15], v[14:15], v[106:107]
	v_mul_f64 v[106:107], v[158:159], s[18:19]
	v_add_f64 v[4:5], v[108:109], v[4:5]
	v_add_f64 v[98:99], v[98:99], v[136:137]
	v_mul_f64 v[136:137], v[206:207], s[56:57]
	v_fmac_f64_e32 v[190:191], s[56:57], v[202:203]
	v_add_f64 v[18:19], v[166:167], v[18:19]
	v_add_f64 v[100:101], v[102:103], v[100:101]
	v_fma_f64 v[102:103], v[176:177], s[6:7], -v[180:181]
	v_add_f64 v[106:107], v[124:125], v[106:107]
	v_add_f64 v[4:5], v[10:11], v[4:5]
	v_add_f64 v[100:101], v[102:103], v[100:101]
	v_add_f64 v[102:103], v[190:191], v[18:19]
	v_fma_f64 v[18:19], v[196:197], s[16:17], -v[136:137]
	v_add_f64 v[4:5], v[106:107], v[4:5]
	v_add_f64 v[100:101], v[18:19], v[100:101]
	v_mul_f64 v[18:19], v[204:205], s[6:7]
	v_mul_f64 v[104:105], v[172:173], s[22:23]
	v_add_f64 v[4:5], v[14:15], v[4:5]
	v_mul_f64 v[14:15], v[170:171], s[22:23]
	v_add_f64 v[16:17], v[16:17], v[18:19]
	v_mul_f64 v[18:19], v[178:179], s[14:15]
	v_add_f64 v[104:105], v[130:131], v[104:105]
	v_add_f64 v[8:9], v[14:15], -v[8:9]
	v_mul_f64 v[14:15], v[162:163], s[2:3]
	v_add_f64 v[18:19], v[134:135], v[18:19]
	v_add_f64 v[4:5], v[104:105], v[4:5]
	v_add_f64 v[6:7], v[14:15], -v[6:7]
	v_mul_f64 v[14:15], v[156:157], s[18:19]
	v_add_f64 v[4:5], v[18:19], v[4:5]
	v_add_f64 v[2:3], v[14:15], -v[2:3]
	v_mul_f64 v[14:15], v[148:149], s[16:17]
	v_mul_f64 v[18:19], v[128:129], s[20:21]
	v_add_f64 v[0:1], v[14:15], -v[0:1]
	v_mul_f64 v[14:15], v[140:141], s[4:5]
	v_add_f64 v[18:19], v[18:19], -v[118:119]
	v_add_f64 v[14:15], v[14:15], -v[254:255]
	v_add_f64 v[18:19], v[20:21], v[18:19]
	v_add_f64 v[14:15], v[14:15], v[18:19]
	;; [unrolled: 1-line block ×3, first 2 shown]
	v_mul_f64 v[10:11], v[196:197], s[6:7]
	v_add_f64 v[0:1], v[2:3], v[0:1]
	v_add_f64 v[10:11], v[10:11], -v[12:13]
	v_mul_f64 v[12:13], v[176:177], s[14:15]
	v_add_f64 v[0:1], v[6:7], v[0:1]
	v_add_f64 v[12:13], v[12:13], -v[122:123]
	v_add_f64 v[0:1], v[8:9], v[0:1]
	v_mul_f64 v[14:15], v[132:133], s[18:19]
	v_add_f64 v[0:1], v[12:13], v[0:1]
	v_mul_f64 v[12:13], v[142:143], s[6:7]
	;; [unrolled: 2-line block ×3, first 2 shown]
	v_add_f64 v[106:107], v[16:17], v[4:5]
	v_add_f64 v[104:105], v[10:11], v[0:1]
	v_mul_f64 v[10:11], v[150:151], s[2:3]
	v_add_f64 v[12:13], v[238:239], v[12:13]
	v_add_f64 v[14:15], v[22:23], v[14:15]
	v_mul_f64 v[16:17], v[140:141], s[6:7]
	v_add_f64 v[18:19], v[18:19], -v[226:227]
	v_mul_f64 v[8:9], v[158:159], s[20:21]
	v_add_f64 v[10:11], v[242:243], v[10:11]
	v_add_f64 v[12:13], v[12:13], v[14:15]
	v_mul_f64 v[14:15], v[148:149], s[2:3]
	v_add_f64 v[16:17], v[16:17], -v[228:229]
	v_add_f64 v[18:19], v[20:21], v[18:19]
	v_mul_f64 v[6:7], v[164:165], s[16:17]
	v_add_f64 v[8:9], v[246:247], v[8:9]
	v_add_f64 v[10:11], v[10:11], v[12:13]
	v_mul_f64 v[12:13], v[156:157], s[20:21]
	v_add_f64 v[14:15], v[14:15], -v[230:231]
	v_add_f64 v[16:17], v[16:17], v[18:19]
	;; [unrolled: 6-line block ×3, first 2 shown]
	v_accvgpr_read_b32 v18, a138
	v_mul_f64 v[2:3], v[178:179], s[22:23]
	v_add_f64 v[4:5], v[250:251], v[4:5]
	v_add_f64 v[6:7], v[6:7], v[8:9]
	v_mul_f64 v[8:9], v[170:171], s[14:15]
	v_add_f64 v[10:11], v[10:11], -v[236:237]
	v_add_f64 v[12:13], v[12:13], v[14:15]
	v_mul_f64 v[14:15], v[132:133], s[6:7]
	v_mul_f64 v[16:17], v[140:141], s[20:21]
	v_accvgpr_read_b32 v19, a139
	v_accvgpr_read_b32 v112, a136
	v_add_f64 v[2:3], v[252:253], v[2:3]
	v_add_f64 v[4:5], v[4:5], v[6:7]
	v_mul_f64 v[6:7], v[176:177], s[22:23]
	v_add_f64 v[8:9], v[8:9], -v[240:241]
	v_add_f64 v[10:11], v[10:11], v[12:13]
	v_mul_f64 v[12:13], v[142:143], s[20:21]
	v_add_f64 v[14:15], v[198:199], v[14:15]
	v_add_f64 v[16:17], v[16:17], -v[18:19]
	v_mul_f64 v[18:19], v[128:129], s[6:7]
	v_accvgpr_read_b32 v113, a137
	v_add_f64 v[2:3], v[2:3], v[4:5]
	v_mul_f64 v[4:5], v[196:197], s[4:5]
	v_add_f64 v[6:7], v[6:7], -v[244:245]
	v_add_f64 v[8:9], v[8:9], v[10:11]
	v_mul_f64 v[10:11], v[150:151], s[14:15]
	v_add_f64 v[12:13], v[208:209], v[12:13]
	v_add_f64 v[14:15], v[22:23], v[14:15]
	v_add_f64 v[18:19], v[18:19], -v[112:113]
	v_add_f64 v[4:5], v[4:5], -v[188:189]
	v_add_f64 v[6:7], v[6:7], v[8:9]
	v_mul_f64 v[8:9], v[158:159], s[4:5]
	v_add_f64 v[10:11], v[212:213], v[10:11]
	v_add_f64 v[12:13], v[12:13], v[14:15]
	v_mul_f64 v[14:15], v[148:149], s[14:15]
	v_add_f64 v[18:19], v[20:21], v[18:19]
	v_mul_f64 v[0:1], v[204:205], s[4:5]
	;; [unrolled: 2-line block ×3, first 2 shown]
	v_add_f64 v[8:9], v[216:217], v[8:9]
	v_add_f64 v[10:11], v[10:11], v[12:13]
	v_mul_f64 v[12:13], v[156:157], s[4:5]
	v_add_f64 v[14:15], v[14:15], -v[192:193]
	v_add_f64 v[16:17], v[16:17], v[18:19]
	v_add_f64 v[0:1], v[116:117], v[0:1]
	v_mul_f64 v[4:5], v[172:173], s[16:17]
	v_add_f64 v[6:7], v[220:221], v[6:7]
	v_add_f64 v[8:9], v[8:9], v[10:11]
	v_mul_f64 v[10:11], v[162:163], s[22:23]
	v_add_f64 v[12:13], v[12:13], -v[194:195]
	v_add_f64 v[14:15], v[14:15], v[16:17]
	v_add_f64 v[110:111], v[0:1], v[2:3]
	v_mul_f64 v[2:3], v[178:179], s[2:3]
	v_add_f64 v[4:5], v[184:185], v[4:5]
	v_add_f64 v[6:7], v[6:7], v[8:9]
	v_mul_f64 v[8:9], v[170:171], s[16:17]
	v_add_f64 v[10:11], v[10:11], -v[200:201]
	v_add_f64 v[12:13], v[12:13], v[14:15]
	v_mul_f64 v[0:1], v[204:205], s[18:19]
	v_add_f64 v[2:3], v[222:223], v[2:3]
	v_add_f64 v[4:5], v[4:5], v[6:7]
	v_mul_f64 v[6:7], v[176:177], s[2:3]
	v_add_f64 v[8:9], v[8:9], -v[210:211]
	v_add_f64 v[10:11], v[10:11], v[12:13]
	v_add_f64 v[0:1], v[224:225], v[0:1]
	;; [unrolled: 1-line block ×3, first 2 shown]
	v_mul_f64 v[4:5], v[196:197], s[18:19]
	v_add_f64 v[6:7], v[6:7], -v[214:215]
	v_add_f64 v[8:9], v[8:9], v[10:11]
	v_add_f64 v[4:5], v[4:5], -v[218:219]
	v_add_f64 v[6:7], v[6:7], v[8:9]
	v_add_f64 v[114:115], v[0:1], v[2:3]
	v_accvgpr_read_b32 v2, a134
	v_add_f64 v[112:113], v[4:5], v[6:7]
	v_mul_f64 v[0:1], v[204:205], s[14:15]
	v_accvgpr_read_b32 v3, a135
	v_accvgpr_read_b32 v4, a132
	v_add_f64 v[0:1], v[2:3], v[0:1]
	v_mul_f64 v[2:3], v[178:179], s[18:19]
	v_accvgpr_read_b32 v5, a133
	;; [unrolled: 4-line block ×8, first 2 shown]
	v_add_f64 v[14:15], v[16:17], v[14:15]
	v_add_f64 v[14:15], v[22:23], v[14:15]
	;; [unrolled: 1-line block ×7, first 2 shown]
	v_accvgpr_read_b32 v6, a126
	v_add_f64 v[2:3], v[2:3], v[4:5]
	v_mul_f64 v[4:5], v[196:197], s[14:15]
	v_accvgpr_read_b32 v7, a127
	v_accvgpr_read_b32 v8, a122
	v_add_f64 v[4:5], v[4:5], -v[6:7]
	v_mul_f64 v[6:7], v[176:177], s[18:19]
	v_accvgpr_read_b32 v9, a123
	v_accvgpr_read_b32 v10, a118
	v_add_f64 v[6:7], v[6:7], -v[8:9]
	;; [unrolled: 4-line block ×7, first 2 shown]
	v_mul_f64 v[18:19], v[128:129], s[16:17]
	v_accvgpr_read_b32 v116, a104
	v_add_f64 v[18:19], v[18:19], -v[116:117]
	v_add_f64 v[18:19], v[20:21], v[18:19]
	v_add_f64 v[16:17], v[16:17], v[18:19]
	;; [unrolled: 1-line block ×8, first 2 shown]
	v_accvgpr_read_b32 v2, a102
	v_add_f64 v[116:117], v[4:5], v[6:7]
	v_mul_f64 v[0:1], v[204:205], s[20:21]
	v_accvgpr_read_b32 v3, a103
	v_accvgpr_read_b32 v4, a100
	v_add_f64 v[0:1], v[2:3], v[0:1]
	v_mul_f64 v[2:3], v[178:179], s[16:17]
	v_accvgpr_read_b32 v5, a101
	;; [unrolled: 4-line block ×8, first 2 shown]
	v_add_f64 v[14:15], v[16:17], v[14:15]
	v_add_f64 v[14:15], v[22:23], v[14:15]
	;; [unrolled: 1-line block ×7, first 2 shown]
	v_accvgpr_read_b32 v127, a91
	v_mul_f64 v[16:17], v[128:129], s[2:3]
	v_mul_f64 v[12:13], v[128:129], s[14:15]
	;; [unrolled: 1-line block ×3, first 2 shown]
	v_add_f64 v[2:3], v[2:3], v[4:5]
	v_mul_f64 v[4:5], v[196:197], s[20:21]
	v_accvgpr_read_b32 v126, a90
	v_accvgpr_read_b32 v129, a85
	v_add_f64 v[4:5], v[4:5], -v[126:127]
	v_mul_f64 v[126:127], v[176:177], s[16:17]
	v_accvgpr_read_b32 v128, a84
	v_accvgpr_read_b32 v131, a83
	v_mul_f64 v[14:15], v[132:133], s[2:3]
	v_mul_f64 v[18:19], v[132:133], s[14:15]
	v_add_f64 v[126:127], v[126:127], -v[128:129]
	v_mul_f64 v[128:129], v[170:171], s[2:3]
	v_accvgpr_read_b32 v130, a82
	v_accvgpr_read_b32 v133, a81
	;; [unrolled: 1-line block ×3, first 2 shown]
	v_add_f64 v[128:129], v[128:129], -v[130:131]
	v_mul_f64 v[130:131], v[162:163], s[14:15]
	v_accvgpr_read_b32 v132, a80
	v_accvgpr_read_b32 v135, a79
	;; [unrolled: 1-line block ×4, first 2 shown]
	v_fma_f64 v[206:207], s[16:17], v[196:197], v[136:137]
	v_mul_f64 v[124:125], v[140:141], s[18:19]
	v_add_f64 v[130:131], v[130:131], -v[132:133]
	v_mul_f64 v[132:133], v[156:157], s[6:7]
	v_accvgpr_read_b32 v134, a78
	v_accvgpr_read_b32 v137, a77
	;; [unrolled: 1-line block ×3, first 2 shown]
	v_add_f64 v[120:121], v[120:121], -v[144:145]
	v_add_f64 v[132:133], v[132:133], -v[134:135]
	v_mul_f64 v[134:135], v[148:149], s[22:23]
	v_accvgpr_read_b32 v136, a76
	v_add_f64 v[124:125], v[124:125], -v[138:139]
	v_add_f64 v[120:121], v[20:21], v[120:121]
	v_accvgpr_read_b32 v169, a69
	v_mul_f64 v[122:123], v[140:141], s[14:15]
	v_mul_f64 v[10:11], v[140:141], s[16:17]
	v_add_f64 v[134:135], v[134:135], -v[136:137]
	v_mul_f64 v[136:137], v[148:149], s[4:5]
	v_mul_f64 v[140:141], v[148:149], s[18:19]
	v_add_f64 v[120:121], v[124:125], v[120:121]
	v_mul_f64 v[124:125], v[158:159], s[16:17]
	v_mul_f64 v[148:149], v[158:159], s[22:23]
	;; [unrolled: 1-line block ×3, first 2 shown]
	v_accvgpr_read_b32 v168, a68
	v_add_f64 v[158:159], v[168:169], v[158:159]
	v_accvgpr_read_b32 v169, a67
	v_mul_f64 v[144:145], v[156:157], s[16:17]
	v_mul_f64 v[146:147], v[156:157], s[22:23]
	;; [unrolled: 1-line block ×3, first 2 shown]
	v_accvgpr_read_b32 v168, a66
	v_add_f64 v[156:157], v[168:169], v[156:157]
	v_accvgpr_read_b32 v169, a63
	v_mul_f64 v[152:153], v[164:165], s[20:21]
	v_accvgpr_read_b32 v168, a62
	v_add_f64 v[152:153], v[168:169], v[152:153]
	v_accvgpr_read_b32 v169, a59
	v_accvgpr_read_b32 v168, a58
	v_add_f64 v[148:149], v[168:169], v[148:149]
	v_accvgpr_read_b32 v169, a55
	v_mul_f64 v[8:9], v[142:143], s[14:15]
	v_mul_f64 v[6:7], v[142:143], s[16:17]
	;; [unrolled: 1-line block ×3, first 2 shown]
	v_accvgpr_read_b32 v168, a54
	v_add_f64 v[142:143], v[168:169], v[142:143]
	v_accvgpr_read_b32 v169, a51
	v_accvgpr_read_b32 v168, a50
	v_add_f64 v[6:7], v[168:169], v[6:7]
	v_accvgpr_read_b32 v169, a49
	v_accvgpr_read_b32 v168, a48
	v_add_f64 v[18:19], v[168:169], v[18:19]
	v_add_f64 v[18:19], v[22:23], v[18:19]
	;; [unrolled: 1-line block ×5, first 2 shown]
	v_accvgpr_read_b32 v149, a53
	v_mul_f64 v[138:139], v[150:151], s[4:5]
	v_mul_f64 v[150:151], v[162:163], s[20:21]
	v_accvgpr_read_b32 v148, a52
	v_add_f64 v[148:149], v[150:151], -v[148:149]
	v_accvgpr_read_b32 v151, a47
	v_accvgpr_read_b32 v150, a46
	v_add_f64 v[146:147], v[146:147], -v[150:151]
	v_accvgpr_read_b32 v151, a45
	;; [unrolled: 3-line block ×3, first 2 shown]
	v_add_f64 v[120:121], v[134:135], v[120:121]
	v_accvgpr_read_b32 v150, a42
	v_add_f64 v[120:121], v[132:133], v[120:121]
	v_add_f64 v[10:11], v[10:11], -v[150:151]
	v_accvgpr_read_b32 v151, a41
	v_add_f64 v[120:121], v[130:131], v[120:121]
	v_accvgpr_read_b32 v150, a40
	v_add_f64 v[120:121], v[128:129], v[120:121]
	v_add_f64 v[12:13], v[12:13], -v[150:151]
	v_add_f64 v[120:121], v[126:127], v[120:121]
	v_accvgpr_read_b32 v143, a61
	v_add_f64 v[12:13], v[20:21], v[12:13]
	v_add_f64 v[2:3], v[0:1], v[2:3]
	;; [unrolled: 1-line block ×3, first 2 shown]
	v_mul_f64 v[4:5], v[176:177], s[4:5]
	v_accvgpr_read_b32 v142, a60
	v_add_f64 v[10:11], v[10:11], v[12:13]
	v_add_f64 v[4:5], v[4:5], -v[142:143]
	v_accvgpr_read_b32 v143, a57
	v_add_f64 v[10:11], v[140:141], v[10:11]
	v_mul_f64 v[154:155], v[170:171], s[6:7]
	v_accvgpr_read_b32 v142, a56
	v_add_f64 v[10:11], v[146:147], v[10:11]
	v_accvgpr_read_b32 v12, a34
	v_mul_f64 v[120:121], v[178:179], s[20:21]
	v_accvgpr_read_b32 v18, a64
	v_add_f64 v[142:143], v[154:155], -v[142:143]
	v_add_f64 v[10:11], v[148:149], v[10:11]
	v_accvgpr_read_b32 v13, a35
	v_mul_f64 v[166:167], v[196:197], s[2:3]
	v_accvgpr_read_b32 v19, a65
	v_add_f64 v[10:11], v[142:143], v[10:11]
	v_add_f64 v[12:13], v[12:13], v[120:121]
	v_accvgpr_read_b32 v121, a27
	v_mul_f64 v[132:133], v[164:165], s[6:7]
	v_add_f64 v[18:19], v[166:167], -v[18:19]
	v_add_f64 v[4:5], v[4:5], v[10:11]
	v_accvgpr_read_b32 v120, a26
	v_add_f64 v[4:5], v[18:19], v[4:5]
	v_accvgpr_read_b32 v18, a30
	;; [unrolled: 2-line block ×3, first 2 shown]
	v_mul_f64 v[128:129], v[172:173], s[18:19]
	v_accvgpr_read_b32 v19, a31
	v_accvgpr_read_b32 v133, a151
	v_add_f64 v[18:19], v[18:19], v[128:129]
	v_accvgpr_read_b32 v128, a154
	v_add_f64 v[8:9], v[132:133], v[8:9]
	v_accvgpr_read_b32 v132, a146
	v_accvgpr_read_b32 v129, a155
	;; [unrolled: 1-line block ×3, first 2 shown]
	v_add_f64 v[124:125], v[128:129], v[124:125]
	v_accvgpr_read_b32 v128, a152
	v_add_f64 v[14:15], v[132:133], v[14:15]
	v_accvgpr_read_b32 v129, a153
	v_add_f64 v[14:15], v[22:23], v[14:15]
	v_add_f64 v[128:129], v[128:129], v[138:139]
	;; [unrolled: 1-line block ×8, first 2 shown]
	v_accvgpr_read_b32 v12, a32
	v_mul_f64 v[126:127], v[176:177], s[20:21]
	v_accvgpr_read_b32 v13, a33
	v_add_f64 v[12:13], v[126:127], -v[12:13]
	v_accvgpr_read_b32 v126, a142
	v_accvgpr_read_b32 v127, a143
	v_add_f64 v[122:123], v[122:123], -v[126:127]
	v_accvgpr_read_b32 v126, a140
	v_accvgpr_read_b32 v127, a141
	;; [unrolled: 1-line block ×3, first 2 shown]
	v_add_f64 v[16:17], v[16:17], -v[126:127]
	v_accvgpr_read_b32 v120, a148
	v_accvgpr_read_b32 v125, a145
	v_add_f64 v[16:17], v[20:21], v[16:17]
	v_accvgpr_read_b32 v10, a38
	v_accvgpr_read_b32 v18, a156
	;; [unrolled: 1-line block ×3, first 2 shown]
	v_add_f64 v[124:125], v[136:137], -v[124:125]
	v_add_f64 v[16:17], v[122:123], v[16:17]
	v_mul_f64 v[134:135], v[162:163], s[6:7]
	v_mul_f64 v[164:165], v[204:205], s[22:23]
	v_accvgpr_read_b32 v11, a39
	v_accvgpr_read_b32 v14, a28
	;; [unrolled: 1-line block ×3, first 2 shown]
	v_add_f64 v[120:121], v[144:145], -v[120:121]
	v_add_f64 v[16:17], v[124:125], v[16:17]
	v_mul_f64 v[130:131], v[170:171], s[18:19]
	v_accvgpr_read_b32 v163, a71
	v_add_f64 v[10:11], v[10:11], v[164:165]
	v_accvgpr_read_b32 v15, a29
	v_add_f64 v[18:19], v[134:135], -v[18:19]
	v_add_f64 v[16:17], v[120:121], v[16:17]
	v_mul_f64 v[160:161], v[204:205], s[2:3]
	v_accvgpr_read_b32 v162, a70
	v_add_f64 v[10:11], v[10:11], v[8:9]
	v_accvgpr_read_b32 v8, a36
	v_add_f64 v[14:15], v[130:131], -v[14:15]
	v_add_f64 v[16:17], v[18:19], v[16:17]
	v_add_f64 v[160:161], v[162:163], v[160:161]
	v_mul_f64 v[162:163], v[196:197], s[22:23]
	v_accvgpr_read_b32 v9, a37
	v_add_f64 v[14:15], v[14:15], v[16:17]
	v_add_f64 v[8:9], v[162:163], -v[8:9]
	v_add_f64 v[12:13], v[12:13], v[14:15]
	v_add_f64 v[8:9], v[8:9], v[12:13]
	;; [unrolled: 1-line block ×33, first 2 shown]
	v_accvgpr_read_b32 v152, a24
	v_add_f64 v[6:7], v[156:157], v[6:7]
	v_add_f64 v[12:13], v[12:13], v[80:81]
	v_accvgpr_read_b32 v16, a3
	v_add_f64 v[6:7], v[158:159], v[6:7]
	v_add_f64 v[12:13], v[12:13], v[84:85]
	v_add_lshl_u32 v16, v152, v16, 4
	v_add_f64 v[96:97], v[206:207], v[96:97]
	v_add_f64 v[6:7], v[160:161], v[6:7]
	ds_write_b128 v16, v[12:15]
	ds_write_b128 v16, v[8:11] offset:16
	ds_write_b128 v16, v[4:7] offset:32
	;; [unrolled: 1-line block ×16, first 2 shown]
.LBB0_7:
	s_or_b64 exec, exec, s[0:1]
	v_accvgpr_read_b32 v29, a1
	v_accvgpr_read_b32 v28, a0
	v_add_lshl_u32 v143, v152, v28, 4
	s_waitcnt lgkmcnt(0)
	s_barrier
	ds_read_b128 v[60:63], v143
	ds_read_b128 v[48:51], v143 offset:544
	ds_read_b128 v[64:67], v143 offset:3536
	;; [unrolled: 1-line block ×9, first 2 shown]
	v_cmp_gt_u16_e64 s[0:1], 17, v28
	s_and_saveexec_b64 s[2:3], s[0:1]
	s_cbranch_execz .LBB0_9
; %bb.8:
	ds_read_b128 v[88:91], v143 offset:2720
	ds_read_b128 v[92:95], v143 offset:5712
.LBB0_9:
	s_or_b64 exec, exec, s[2:3]
	s_movk_i32 s2, 0xffef
	s_mov_b32 s3, -1
	v_lshl_add_u64 v[0:1], v[28:29], 0, s[2:3]
	v_add_u16_e32 v2, 34, v28
	s_movk_i32 s2, 0xf1
	v_cndmask_b32_e64 v19, v1, 0, s[0:1]
	v_cndmask_b32_e64 v18, v0, v28, s[0:1]
	v_mul_lo_u16_sdwa v3, v2, s2 dst_sel:DWORD dst_unused:UNUSED_PAD src0_sel:BYTE_0 src1_sel:DWORD
	v_lshl_add_u64 v[0:1], v[18:19], 4, s[10:11]
	v_lshrrev_b16_e32 v19, 12, v3
	v_mul_lo_u16_e32 v3, 17, v19
	v_sub_u16_e32 v20, v2, v3
	v_mov_b32_e32 v2, 4
	v_lshlrev_b32_sdwa v3, v2, v20 dst_sel:DWORD dst_unused:UNUSED_PAD src0_sel:DWORD src1_sel:BYTE_0
	global_load_dwordx4 v[6:9], v[0:1], off
	global_load_dwordx4 v[34:37], v3, s[10:11]
	v_add_u16_e32 v0, 0x44, v28
	v_mul_lo_u16_sdwa v1, v0, s2 dst_sel:DWORD dst_unused:UNUSED_PAD src0_sel:BYTE_0 src1_sel:DWORD
	v_lshrrev_b16_e32 v1, 12, v1
	v_mul_lo_u16_e32 v3, 17, v1
	v_sub_u16_e32 v21, v0, v3
	v_add_u16_e32 v3, 0x66, v28
	v_mul_lo_u16_sdwa v4, v3, s2 dst_sel:DWORD dst_unused:UNUSED_PAD src0_sel:BYTE_0 src1_sel:DWORD
	v_lshrrev_b16_e32 v22, 12, v4
	v_mul_lo_u16_e32 v4, 17, v22
	v_lshlrev_b32_sdwa v0, v2, v21 dst_sel:DWORD dst_unused:UNUSED_PAD src0_sel:DWORD src1_sel:BYTE_0
	v_sub_u16_e32 v23, v3, v4
	v_lshlrev_b32_sdwa v3, v2, v23 dst_sel:DWORD dst_unused:UNUSED_PAD src0_sel:DWORD src1_sel:BYTE_0
	global_load_dwordx4 v[84:87], v0, s[10:11]
	global_load_dwordx4 v[38:41], v3, s[10:11]
	v_add_u16_e32 v0, 0x88, v28
	v_mul_lo_u16_sdwa v3, v0, s2 dst_sel:DWORD dst_unused:UNUSED_PAD src0_sel:BYTE_0 src1_sel:DWORD
	v_lshrrev_b16_e32 v24, 12, v3
	v_mul_lo_u16_e32 v3, 17, v24
	v_sub_u16_e32 v25, v0, v3
	v_lshlrev_b32_sdwa v0, v2, v25 dst_sel:DWORD dst_unused:UNUSED_PAD src0_sel:DWORD src1_sel:BYTE_0
	global_load_dwordx4 v[96:99], v0, s[10:11]
	v_add_u16_e32 v0, 0xaa, v28
	v_mul_lo_u16_sdwa v2, v0, s2 dst_sel:DWORD dst_unused:UNUSED_PAD src0_sel:BYTE_0 src1_sel:DWORD
	v_lshrrev_b16_e32 v2, 12, v2
	v_mul_lo_u16_e32 v2, 17, v2
	v_sub_u16_e32 v0, v0, v2
	v_accvgpr_write_b32 a1, v0
	v_and_b32_e32 v0, 0xff, v0
	v_lshlrev_b32_e32 v2, 4, v0
	global_load_dwordx4 v[30:33], v2, s[10:11]
	v_cmp_lt_u16_e64 s[2:3], 16, v28
	s_load_dwordx4 s[4:7], s[24:25], 0x0
	s_waitcnt lgkmcnt(0)
	v_cndmask_b32_e64 v26, 0, 34, s[2:3]
	v_add_u32_e32 v18, v18, v26
	v_add_lshl_u32 v18, v152, v18, 4
	s_barrier
	v_mul_u32_u24_e32 v1, 34, v1
	v_add_u32_sdwa v1, v1, v21 dst_sel:DWORD dst_unused:UNUSED_PAD src0_sel:DWORD src1_sel:BYTE_0
	v_accvgpr_write_b32 a48, v18
	s_waitcnt vmcnt(5)
	v_mul_f64 v[2:3], v[82:83], v[8:9]
	v_mul_f64 v[4:5], v[80:81], v[8:9]
	v_fma_f64 v[2:3], v[80:81], v[6:7], -v[2:3]
	v_accvgpr_write_b32 a35, v9
	v_fmac_f64_e32 v[4:5], v[82:83], v[6:7]
	v_accvgpr_write_b32 a34, v8
	v_accvgpr_write_b32 a33, v7
	;; [unrolled: 1-line block ×3, first 2 shown]
	s_waitcnt vmcnt(4)
	v_mul_f64 v[6:7], v[66:67], v[36:37]
	v_mul_f64 v[12:13], v[64:65], v[36:37]
	v_add_f64 v[2:3], v[60:61], -v[2:3]
	v_add_f64 v[4:5], v[62:63], -v[4:5]
	v_fma_f64 v[64:65], v[64:65], v[34:35], -v[6:7]
	s_waitcnt vmcnt(3)
	v_mul_f64 v[8:9], v[70:71], v[86:87]
	s_waitcnt vmcnt(2)
	v_mul_f64 v[10:11], v[78:79], v[40:41]
	v_mul_f64 v[16:17], v[68:69], v[86:87]
	v_fmac_f64_e32 v[12:13], v[66:67], v[34:35]
	v_fma_f64 v[66:67], v[68:69], v[84:85], -v[8:9]
	v_fma_f64 v[68:69], v[76:77], v[38:39], -v[10:11]
	v_fma_f64 v[6:7], v[60:61], 2.0, -v[2:3]
	ds_write_b128 v18, v[2:5] offset:272
	s_waitcnt vmcnt(1)
	v_mul_f64 v[82:83], v[72:73], v[98:99]
	v_mad_legacy_u16 v2, v19, 34, v20
	v_mul_f64 v[14:15], v[74:75], v[98:99]
	v_fmac_f64_e32 v[82:83], v[74:75], v[96:97]
	v_add_f64 v[12:13], v[50:51], -v[12:13]
	v_and_b32_e32 v2, 0xff, v2
	v_fma_f64 v[8:9], v[62:63], 2.0, -v[4:5]
	v_fma_f64 v[50:51], v[50:51], 2.0, -v[12:13]
	v_add_lshl_u32 v2, v152, v2, 4
	s_waitcnt vmcnt(0)
	v_mul_f64 v[10:11], v[94:95], v[32:33]
	v_fma_f64 v[74:75], v[92:93], v[30:31], -v[10:11]
	v_add_f64 v[10:11], v[48:49], -v[64:65]
	v_fma_f64 v[48:49], v[48:49], 2.0, -v[10:11]
	ds_write_b128 v18, v[6:9]
	ds_write_b128 v2, v[48:51]
	v_add_lshl_u32 v48, v152, v1, 4
	v_mul_u32_u24_e32 v1, 34, v22
	v_mul_f64 v[80:81], v[76:77], v[40:41]
	v_add_u32_sdwa v1, v1, v23 dst_sel:DWORD dst_unused:UNUSED_PAD src0_sel:DWORD src1_sel:BYTE_0
	v_fmac_f64_e32 v[16:17], v[70:71], v[84:85]
	v_fmac_f64_e32 v[80:81], v[78:79], v[38:39]
	v_fma_f64 v[70:71], v[72:73], v[96:97], -v[14:15]
	v_mul_f64 v[72:73], v[92:93], v[32:33]
	v_add_lshl_u32 v49, v152, v1, 4
	v_mul_u32_u24_e32 v1, 34, v24
	v_accvgpr_write_b32 a28, v34
	v_accvgpr_write_b32 a40, v84
	;; [unrolled: 1-line block ×5, first 2 shown]
	v_fmac_f64_e32 v[72:73], v[94:95], v[30:31]
	v_add_f64 v[14:15], v[56:57], -v[66:67]
	v_add_f64 v[16:17], v[58:59], -v[16:17]
	;; [unrolled: 1-line block ×6, first 2 shown]
	v_add_u32_sdwa v1, v1, v25 dst_sel:DWORD dst_unused:UNUSED_PAD src0_sel:DWORD src1_sel:BYTE_0
	v_accvgpr_write_b32 a29, v35
	v_accvgpr_write_b32 a30, v36
	;; [unrolled: 1-line block ×15, first 2 shown]
	v_fma_f64 v[56:57], v[56:57], 2.0, -v[14:15]
	v_fma_f64 v[58:59], v[58:59], 2.0, -v[16:17]
	;; [unrolled: 1-line block ×6, first 2 shown]
	v_add_f64 v[84:85], v[88:89], -v[74:75]
	v_add_f64 v[86:87], v[90:91], -v[72:73]
	v_accvgpr_write_b32 a49, v2
	v_add_lshl_u32 v50, v152, v1, 4
	ds_write_b128 v2, v[10:13] offset:272
	ds_write_b128 v48, v[56:59]
	ds_write_b128 v48, v[14:17] offset:272
	ds_write_b128 v49, v[52:55]
	;; [unrolled: 2-line block ×3, first 2 shown]
	ds_write_b128 v50, v[64:67] offset:272
	s_mov_b64 s[2:3], exec
	v_accvgpr_read_b32 v33, a7
	v_accvgpr_read_b32 v37, a11
	;; [unrolled: 1-line block ×4, first 2 shown]
	s_and_b64 s[14:15], s[2:3], s[0:1]
	v_accvgpr_read_b32 v32, a6
	v_accvgpr_read_b32 v31, a5
	;; [unrolled: 1-line block ×12, first 2 shown]
	s_mov_b64 exec, s[14:15]
	s_cbranch_execz .LBB0_11
; %bb.10:
	v_fma_f64 v[4:5], v[90:91], 2.0, -v[86:87]
	v_fma_f64 v[2:3], v[88:89], 2.0, -v[84:85]
	v_add_lshl_u32 v0, v152, v0, 4
	ds_write_b128 v0, v[2:5] offset:5440
	ds_write_b128 v0, v[84:87] offset:5712
.LBB0_11:
	s_or_b64 exec, exec, s[2:3]
	s_movk_i32 s2, 0xa0
	v_mov_b64_e32 v[0:1], s[10:11]
	v_mad_u64_u32 v[0:1], s[2:3], v28, s2, v[0:1]
	s_waitcnt lgkmcnt(0)
	s_barrier
	global_load_dwordx4 v[56:59], v[0:1], off offset:272
	global_load_dwordx4 v[52:55], v[0:1], off offset:288
	;; [unrolled: 1-line block ×10, first 2 shown]
	ds_read_b128 v[10:13], v143
	ds_read_b128 v[6:9], v143 offset:544
	ds_read_b128 v[14:17], v143 offset:1088
	;; [unrolled: 1-line block ×10, first 2 shown]
	s_mov_b32 s18, 0xf8bb580b
	s_mov_b32 s16, 0x43842ef
	;; [unrolled: 1-line block ×26, first 2 shown]
	s_waitcnt vmcnt(9) lgkmcnt(9)
	v_mul_f64 v[0:1], v[8:9], v[58:59]
	v_mul_f64 v[18:19], v[6:7], v[58:59]
	s_waitcnt vmcnt(8) lgkmcnt(8)
	v_mul_f64 v[124:125], v[16:17], v[54:55]
	v_mul_f64 v[126:127], v[14:15], v[54:55]
	s_waitcnt vmcnt(7) lgkmcnt(7)
	v_mul_f64 v[130:131], v[88:89], v[44:45]
	s_waitcnt vmcnt(5) lgkmcnt(5)
	v_mul_f64 v[92:93], v[100:101], v[74:75]
	v_fma_f64 v[154:155], v[6:7], v[56:57], -v[0:1]
	v_fmac_f64_e32 v[18:19], v[8:9], v[56:57]
	v_mul_f64 v[128:129], v[90:91], v[44:45]
	v_mul_f64 v[134:135], v[102:103], v[74:75]
	v_fma_f64 v[14:15], v[14:15], v[52:53], -v[124:125]
	v_fmac_f64_e32 v[126:127], v[16:17], v[52:53]
	v_fmac_f64_e32 v[130:131], v[90:91], v[42:43]
	;; [unrolled: 1-line block ×3, first 2 shown]
	v_add_f64 v[90:91], v[10:11], v[154:155]
	v_add_f64 v[102:103], v[12:13], v[18:19]
	v_mul_f64 v[132:133], v[98:99], v[26:27]
	v_mul_f64 v[2:3], v[96:97], v[26:27]
	v_fma_f64 v[16:17], v[88:89], v[42:43], -v[128:129]
	v_add_f64 v[90:91], v[90:91], v[14:15]
	v_add_f64 v[102:103], v[102:103], v[126:127]
	v_fma_f64 v[6:7], v[96:97], v[24:25], -v[132:133]
	v_fmac_f64_e32 v[2:3], v[98:99], v[24:25]
	v_add_f64 v[90:91], v[90:91], v[16:17]
	v_add_f64 v[102:103], v[102:103], v[130:131]
	s_waitcnt vmcnt(4) lgkmcnt(4)
	v_mul_f64 v[136:137], v[106:107], v[70:71]
	v_mul_f64 v[94:95], v[104:105], v[70:71]
	v_fma_f64 v[96:97], v[100:101], v[72:73], -v[134:135]
	v_add_f64 v[90:91], v[90:91], v[6:7]
	v_add_f64 v[102:103], v[102:103], v[2:3]
	s_waitcnt vmcnt(3) lgkmcnt(3)
	v_mul_f64 v[138:139], v[110:111], v[66:67]
	v_mul_f64 v[4:5], v[108:109], v[66:67]
	v_fma_f64 v[0:1], v[104:105], v[68:69], -v[136:137]
	v_fmac_f64_e32 v[94:95], v[106:107], v[68:69]
	v_add_f64 v[90:91], v[90:91], v[96:97]
	v_add_f64 v[102:103], v[102:103], v[92:93]
	s_waitcnt vmcnt(2) lgkmcnt(2)
	v_mul_f64 v[140:141], v[114:115], v[62:63]
	v_mul_f64 v[144:145], v[112:113], v[62:63]
	v_fma_f64 v[8:9], v[108:109], v[64:65], -v[138:139]
	v_fmac_f64_e32 v[4:5], v[110:111], v[64:65]
	v_add_f64 v[90:91], v[90:91], v[0:1]
	v_add_f64 v[102:103], v[102:103], v[94:95]
	s_waitcnt vmcnt(1) lgkmcnt(1)
	v_mul_f64 v[146:147], v[118:119], v[82:83]
	v_mul_f64 v[148:149], v[116:117], v[82:83]
	s_waitcnt vmcnt(0) lgkmcnt(0)
	v_mul_f64 v[152:153], v[120:121], v[78:79]
	v_fma_f64 v[98:99], v[112:113], v[60:61], -v[140:141]
	v_fmac_f64_e32 v[144:145], v[114:115], v[60:61]
	v_add_f64 v[90:91], v[90:91], v[8:9]
	v_add_f64 v[102:103], v[102:103], v[4:5]
	v_mul_f64 v[150:151], v[122:123], v[78:79]
	v_fma_f64 v[100:101], v[116:117], v[80:81], -v[146:147]
	v_fmac_f64_e32 v[148:149], v[118:119], v[80:81]
	v_fmac_f64_e32 v[152:153], v[122:123], v[76:77]
	v_add_f64 v[90:91], v[90:91], v[98:99]
	v_add_f64 v[102:103], v[102:103], v[144:145]
	v_fma_f64 v[88:89], v[120:121], v[76:77], -v[150:151]
	v_add_f64 v[106:107], v[18:19], v[152:153]
	v_add_f64 v[18:19], v[18:19], -v[152:153]
	v_add_f64 v[90:91], v[90:91], v[100:101]
	v_add_f64 v[102:103], v[102:103], v[148:149]
	;; [unrolled: 1-line block ×3, first 2 shown]
	v_add_f64 v[108:109], v[154:155], -v[88:89]
	v_add_f64 v[88:89], v[90:91], v[88:89]
	v_add_f64 v[90:91], v[102:103], v[152:153]
	v_mul_f64 v[102:103], v[18:19], s[18:19]
	v_mul_f64 v[116:117], v[18:19], s[14:15]
	;; [unrolled: 1-line block ×5, first 2 shown]
	v_fma_f64 v[110:111], v[104:105], s[20:21], -v[102:103]
	v_mul_f64 v[112:113], v[108:109], s[18:19]
	v_fmac_f64_e32 v[102:103], s[20:21], v[104:105]
	v_fma_f64 v[118:119], v[104:105], s[2:3], -v[116:117]
	v_mul_f64 v[120:121], v[108:109], s[14:15]
	v_fmac_f64_e32 v[116:117], s[2:3], v[104:105]
	;; [unrolled: 3-line block ×5, first 2 shown]
	v_add_f64 v[110:111], v[10:11], v[110:111]
	v_fma_f64 v[114:115], s[20:21], v[106:107], v[112:113]
	v_add_f64 v[102:103], v[10:11], v[102:103]
	v_fma_f64 v[112:113], v[106:107], s[20:21], -v[112:113]
	v_add_f64 v[118:119], v[10:11], v[118:119]
	v_fma_f64 v[122:123], s[2:3], v[106:107], v[120:121]
	v_add_f64 v[116:117], v[10:11], v[116:117]
	v_fma_f64 v[120:121], v[106:107], s[2:3], -v[120:121]
	;; [unrolled: 4-line block ×5, first 2 shown]
	v_add_f64 v[114:115], v[12:13], v[114:115]
	v_add_f64 v[112:113], v[12:13], v[112:113]
	;; [unrolled: 1-line block ×11, first 2 shown]
	v_add_f64 v[14:15], v[14:15], -v[100:101]
	v_add_f64 v[100:101], v[126:127], -v[148:149]
	v_mul_f64 v[106:107], v[100:101], s[14:15]
	v_fma_f64 v[108:109], v[18:19], s[2:3], -v[106:107]
	v_add_f64 v[104:105], v[126:127], v[148:149]
	v_add_f64 v[108:109], v[108:109], v[110:111]
	v_mul_f64 v[110:111], v[14:15], s[14:15]
	v_fmac_f64_e32 v[106:107], s[2:3], v[18:19]
	v_fma_f64 v[126:127], s[2:3], v[104:105], v[110:111]
	v_add_f64 v[102:103], v[106:107], v[102:103]
	v_fma_f64 v[106:107], v[104:105], s[2:3], -v[110:111]
	v_mul_f64 v[110:111], v[100:101], s[24:25]
	v_add_f64 v[106:107], v[106:107], v[112:113]
	v_fma_f64 v[112:113], v[18:19], s[22:23], -v[110:111]
	v_add_f64 v[112:113], v[112:113], v[118:119]
	v_mul_f64 v[118:119], v[14:15], s[24:25]
	v_fmac_f64_e32 v[110:111], s[22:23], v[18:19]
	v_add_f64 v[114:115], v[126:127], v[114:115]
	v_fma_f64 v[126:127], s[22:23], v[104:105], v[118:119]
	v_add_f64 v[110:111], v[110:111], v[116:117]
	v_fma_f64 v[116:117], v[104:105], s[22:23], -v[118:119]
	v_mul_f64 v[118:119], v[100:101], s[36:37]
	v_add_f64 v[122:123], v[126:127], v[122:123]
	v_add_f64 v[116:117], v[116:117], v[120:121]
	v_fma_f64 v[120:121], v[18:19], s[26:27], -v[118:119]
	v_mul_f64 v[126:127], v[14:15], s[36:37]
	v_fmac_f64_e32 v[118:119], s[26:27], v[18:19]
	v_add_f64 v[120:121], v[120:121], v[128:129]
	v_fma_f64 v[128:129], s[26:27], v[104:105], v[126:127]
	v_add_f64 v[118:119], v[118:119], v[124:125]
	v_fma_f64 v[124:125], v[104:105], s[26:27], -v[126:127]
	v_mul_f64 v[126:127], v[100:101], s[34:35]
	v_add_f64 v[128:129], v[128:129], v[134:135]
	v_add_f64 v[124:125], v[124:125], v[132:133]
	v_fma_f64 v[132:133], v[18:19], s[10:11], -v[126:127]
	v_mul_f64 v[134:135], v[14:15], s[34:35]
	v_add_f64 v[132:133], v[132:133], v[138:139]
	v_fma_f64 v[138:139], s[10:11], v[104:105], v[134:135]
	v_fma_f64 v[134:135], v[104:105], s[10:11], -v[134:135]
	v_mul_f64 v[14:15], v[14:15], s[30:31]
	v_fmac_f64_e32 v[126:127], s[10:11], v[18:19]
	v_add_f64 v[134:135], v[134:135], v[140:141]
	v_mul_f64 v[100:101], v[100:101], s[30:31]
	v_fma_f64 v[140:141], s[20:21], v[104:105], v[14:15]
	v_fma_f64 v[14:15], v[104:105], s[20:21], -v[14:15]
	v_add_f64 v[126:127], v[126:127], v[136:137]
	v_fma_f64 v[136:137], v[18:19], s[20:21], -v[100:101]
	v_fmac_f64_e32 v[100:101], s[20:21], v[18:19]
	v_add_f64 v[12:13], v[14:15], v[12:13]
	v_add_f64 v[14:15], v[16:17], v[98:99]
	v_add_f64 v[16:17], v[16:17], -v[98:99]
	v_add_f64 v[98:99], v[130:131], -v[144:145]
	v_add_f64 v[10:11], v[100:101], v[10:11]
	v_mul_f64 v[100:101], v[98:99], s[16:17]
	v_fma_f64 v[104:105], v[14:15], s[10:11], -v[100:101]
	v_add_f64 v[18:19], v[130:131], v[144:145]
	v_add_f64 v[104:105], v[104:105], v[108:109]
	v_mul_f64 v[108:109], v[16:17], s[16:17]
	v_fmac_f64_e32 v[100:101], s[10:11], v[14:15]
	v_add_f64 v[100:101], v[100:101], v[102:103]
	v_fma_f64 v[102:103], v[18:19], s[10:11], -v[108:109]
	v_add_f64 v[102:103], v[102:103], v[106:107]
	v_mul_f64 v[106:107], v[98:99], s[36:37]
	v_fma_f64 v[130:131], s[10:11], v[18:19], v[108:109]
	v_fma_f64 v[108:109], v[14:15], s[26:27], -v[106:107]
	v_add_f64 v[108:109], v[108:109], v[112:113]
	v_mul_f64 v[112:113], v[16:17], s[36:37]
	v_fmac_f64_e32 v[106:107], s[26:27], v[14:15]
	s_mov_b32 s15, 0x3fed1bb4
	v_add_f64 v[114:115], v[130:131], v[114:115]
	v_fma_f64 v[130:131], s[26:27], v[18:19], v[112:113]
	v_add_f64 v[106:107], v[106:107], v[110:111]
	v_fma_f64 v[110:111], v[18:19], s[26:27], -v[112:113]
	v_mul_f64 v[112:113], v[98:99], s[14:15]
	v_add_f64 v[110:111], v[110:111], v[116:117]
	v_fma_f64 v[116:117], v[14:15], s[2:3], -v[112:113]
	v_add_f64 v[116:117], v[116:117], v[120:121]
	v_mul_f64 v[120:121], v[16:17], s[14:15]
	v_fmac_f64_e32 v[112:113], s[2:3], v[14:15]
	v_add_f64 v[122:123], v[130:131], v[122:123]
	v_fma_f64 v[130:131], s[2:3], v[18:19], v[120:121]
	v_add_f64 v[112:113], v[112:113], v[118:119]
	v_fma_f64 v[118:119], v[18:19], s[2:3], -v[120:121]
	v_mul_f64 v[120:121], v[98:99], s[18:19]
	v_add_f64 v[128:129], v[130:131], v[128:129]
	v_add_f64 v[118:119], v[118:119], v[124:125]
	v_fma_f64 v[124:125], v[14:15], s[20:21], -v[120:121]
	v_mul_f64 v[130:131], v[16:17], s[18:19]
	v_fmac_f64_e32 v[120:121], s[20:21], v[14:15]
	v_add_f64 v[120:121], v[120:121], v[126:127]
	v_fma_f64 v[126:127], v[18:19], s[20:21], -v[130:131]
	v_mul_f64 v[98:99], v[98:99], s[24:25]
	v_mul_f64 v[16:17], v[16:17], s[24:25]
	v_add_f64 v[124:125], v[124:125], v[132:133]
	v_fma_f64 v[132:133], s[20:21], v[18:19], v[130:131]
	v_add_f64 v[126:127], v[126:127], v[134:135]
	v_fma_f64 v[130:131], v[14:15], s[22:23], -v[98:99]
	v_fma_f64 v[134:135], s[22:23], v[18:19], v[16:17]
	v_fmac_f64_e32 v[98:99], s[22:23], v[14:15]
	v_fma_f64 v[14:15], v[18:19], s[22:23], -v[16:17]
	v_add_f64 v[16:17], v[2:3], v[4:5]
	v_add_f64 v[2:3], v[2:3], -v[4:5]
	v_add_f64 v[12:13], v[14:15], v[12:13]
	v_add_f64 v[14:15], v[6:7], v[8:9]
	v_add_f64 v[6:7], v[6:7], -v[8:9]
	v_mul_f64 v[4:5], v[2:3], s[24:25]
	v_fma_f64 v[8:9], v[14:15], s[22:23], -v[4:5]
	v_mul_f64 v[18:19], v[6:7], s[24:25]
	v_fmac_f64_e32 v[4:5], s[22:23], v[14:15]
	v_add_f64 v[10:11], v[98:99], v[10:11]
	v_fma_f64 v[98:99], s[22:23], v[16:17], v[18:19]
	v_add_f64 v[4:5], v[4:5], v[100:101]
	v_fma_f64 v[18:19], v[16:17], s[22:23], -v[18:19]
	v_mul_f64 v[100:101], v[2:3], s[34:35]
	v_add_f64 v[8:9], v[8:9], v[104:105]
	v_add_f64 v[18:19], v[18:19], v[102:103]
	v_fma_f64 v[102:103], v[14:15], s[10:11], -v[100:101]
	v_mul_f64 v[104:105], v[6:7], s[34:35]
	v_fmac_f64_e32 v[100:101], s[10:11], v[14:15]
	v_add_f64 v[102:103], v[102:103], v[108:109]
	v_fma_f64 v[108:109], s[10:11], v[16:17], v[104:105]
	v_add_f64 v[100:101], v[100:101], v[106:107]
	v_mul_f64 v[106:107], v[2:3], s[18:19]
	v_add_f64 v[98:99], v[98:99], v[114:115]
	v_add_f64 v[114:115], v[108:109], v[122:123]
	v_fma_f64 v[108:109], v[14:15], s[20:21], -v[106:107]
	v_fma_f64 v[104:105], v[16:17], s[10:11], -v[104:105]
	v_add_f64 v[116:117], v[108:109], v[116:117]
	v_mul_f64 v[108:109], v[6:7], s[18:19]
	v_add_f64 v[104:105], v[104:105], v[110:111]
	v_fma_f64 v[110:111], s[20:21], v[16:17], v[108:109]
	v_fma_f64 v[108:109], v[16:17], s[20:21], -v[108:109]
	v_add_f64 v[118:119], v[108:109], v[118:119]
	v_mul_f64 v[108:109], v[2:3], s[28:29]
	v_add_f64 v[122:123], v[110:111], v[128:129]
	v_fma_f64 v[110:111], v[14:15], s[26:27], -v[108:109]
	v_add_f64 v[138:139], v[138:139], v[146:147]
	v_fmac_f64_e32 v[106:107], s[20:21], v[14:15]
	v_add_f64 v[124:125], v[110:111], v[124:125]
	v_mul_f64 v[110:111], v[6:7], s[28:29]
	v_add_f64 v[132:133], v[132:133], v[138:139]
	v_add_f64 v[106:107], v[106:107], v[112:113]
	v_fma_f64 v[112:113], s[26:27], v[16:17], v[110:111]
	v_fmac_f64_e32 v[108:109], s[26:27], v[14:15]
	v_add_f64 v[136:137], v[136:137], v[150:151]
	v_add_f64 v[128:129], v[112:113], v[132:133]
	;; [unrolled: 1-line block ×3, first 2 shown]
	v_fma_f64 v[108:109], v[16:17], s[26:27], -v[110:111]
	v_mul_f64 v[2:3], v[2:3], s[14:15]
	v_add_f64 v[130:131], v[130:131], v[136:137]
	v_add_f64 v[126:127], v[108:109], v[126:127]
	v_fma_f64 v[108:109], v[14:15], s[2:3], -v[2:3]
	v_mul_f64 v[6:7], v[6:7], s[14:15]
	v_fmac_f64_e32 v[2:3], s[2:3], v[14:15]
	v_add_f64 v[14:15], v[92:93], -v[94:95]
	v_add_f64 v[130:131], v[108:109], v[130:131]
	v_fma_f64 v[108:109], s[2:3], v[16:17], v[6:7]
	v_add_f64 v[2:3], v[2:3], v[10:11]
	v_fma_f64 v[6:7], v[16:17], s[2:3], -v[6:7]
	v_add_f64 v[10:11], v[96:97], v[0:1]
	v_mul_f64 v[16:17], v[14:15], s[28:29]
	v_add_f64 v[140:141], v[140:141], v[152:153]
	v_add_f64 v[6:7], v[6:7], v[12:13]
	;; [unrolled: 1-line block ×3, first 2 shown]
	v_add_f64 v[0:1], v[96:97], -v[0:1]
	v_fma_f64 v[92:93], v[10:11], s[26:27], -v[16:17]
	v_add_f64 v[134:135], v[134:135], v[140:141]
	v_add_f64 v[92:93], v[92:93], v[8:9]
	v_mul_f64 v[8:9], v[0:1], s[28:29]
	v_fmac_f64_e32 v[16:17], s[26:27], v[10:11]
	v_add_f64 v[134:135], v[108:109], v[134:135]
	v_add_f64 v[108:109], v[16:17], v[4:5]
	v_fma_f64 v[4:5], v[12:13], s[26:27], -v[8:9]
	v_add_f64 v[110:111], v[4:5], v[18:19]
	v_mul_f64 v[4:5], v[14:15], s[30:31]
	v_fma_f64 v[94:95], s[26:27], v[12:13], v[8:9]
	v_fma_f64 v[8:9], v[10:11], s[20:21], -v[4:5]
	v_add_f64 v[96:97], v[8:9], v[102:103]
	v_mul_f64 v[8:9], v[0:1], s[30:31]
	v_fmac_f64_e32 v[4:5], s[20:21], v[10:11]
	v_fma_f64 v[16:17], s[20:21], v[12:13], v[8:9]
	v_add_f64 v[112:113], v[4:5], v[100:101]
	v_fma_f64 v[4:5], v[12:13], s[20:21], -v[8:9]
	v_add_f64 v[94:95], v[94:95], v[98:99]
	v_add_f64 v[98:99], v[16:17], v[114:115]
	;; [unrolled: 1-line block ×3, first 2 shown]
	v_mul_f64 v[4:5], v[14:15], s[24:25]
	v_fma_f64 v[8:9], v[10:11], s[22:23], -v[4:5]
	v_add_f64 v[100:101], v[8:9], v[116:117]
	v_mul_f64 v[8:9], v[0:1], s[24:25]
	v_fmac_f64_e32 v[4:5], s[22:23], v[10:11]
	v_fma_f64 v[16:17], s[22:23], v[12:13], v[8:9]
	v_add_f64 v[120:121], v[4:5], v[106:107]
	v_fma_f64 v[4:5], v[12:13], s[22:23], -v[8:9]
	v_add_f64 v[102:103], v[16:17], v[122:123]
	v_add_f64 v[122:123], v[4:5], v[118:119]
	v_mul_f64 v[4:5], v[14:15], s[14:15]
	v_fma_f64 v[8:9], v[10:11], s[2:3], -v[4:5]
	v_add_f64 v[104:105], v[8:9], v[124:125]
	v_mul_f64 v[8:9], v[0:1], s[14:15]
	v_fmac_f64_e32 v[4:5], s[2:3], v[10:11]
	v_add_f64 v[124:125], v[4:5], v[132:133]
	v_fma_f64 v[4:5], v[12:13], s[2:3], -v[8:9]
	v_add_f64 v[126:127], v[4:5], v[126:127]
	v_mul_f64 v[4:5], v[14:15], s[16:17]
	v_fma_f64 v[16:17], s[2:3], v[12:13], v[8:9]
	v_fma_f64 v[8:9], v[10:11], s[10:11], -v[4:5]
	v_mul_f64 v[0:1], v[0:1], s[16:17]
	v_accvgpr_write_b32 a12, v42
	v_accvgpr_write_b32 a8, v24
	v_accvgpr_read_b32 v146, a0
	v_add_f64 v[116:117], v[8:9], v[130:131]
	v_fma_f64 v[8:9], s[10:11], v[12:13], v[0:1]
	v_fmac_f64_e32 v[4:5], s[10:11], v[10:11]
	v_fma_f64 v[0:1], v[12:13], s[10:11], -v[0:1]
	v_accvgpr_write_b32 a13, v43
	v_accvgpr_write_b32 a14, v44
	;; [unrolled: 1-line block ×6, first 2 shown]
	v_add_f64 v[106:107], v[16:17], v[128:129]
	v_add_f64 v[118:119], v[8:9], v[134:135]
	;; [unrolled: 1-line block ×4, first 2 shown]
	v_lshl_add_u32 v142, v146, 4, v187
	ds_write_b128 v142, v[88:91]
	ds_write_b128 v142, v[92:95] offset:544
	ds_write_b128 v142, v[96:99] offset:1088
	;; [unrolled: 1-line block ×10, first 2 shown]
	s_waitcnt lgkmcnt(0)
	s_barrier
	s_and_saveexec_b64 s[10:11], vcc
	s_cbranch_execz .LBB0_13
; %bb.12:
	s_add_u32 s14, s8, 0x1760
	s_addc_u32 s15, s9, 0
	v_mov_b32_e32 v4, v187
	v_mov_b32_e32 v187, 0
	v_lshl_add_u64 v[132:133], s[14:15], 0, v[186:187]
	v_mov_b32_e32 v187, v4
	global_load_dwordx4 v[4:7], v186, s[14:15]
	ds_read_b128 v[0:3], v142
	s_movk_i32 s2, 0x1000
	v_add_co_u32_e64 v12, s[2:3], s2, v132
	s_nop 1
	v_addc_co_u32_e64 v13, s[2:3], 0, v133, s[2:3]
	ds_read_b128 v[132:135], v142 offset:5632
	s_waitcnt vmcnt(0) lgkmcnt(1)
	v_mul_f64 v[8:9], v[2:3], v[6:7]
	v_mul_f64 v[10:11], v[0:1], v[6:7]
	v_fma_f64 v[8:9], v[0:1], v[4:5], -v[8:9]
	v_fmac_f64_e32 v[10:11], v[2:3], v[4:5]
	global_load_dwordx4 v[4:7], v186, s[14:15] offset:352
	ds_read_b128 v[0:3], v142 offset:352
	ds_write_b128 v142, v[8:11]
	s_waitcnt vmcnt(0) lgkmcnt(1)
	v_mul_f64 v[8:9], v[2:3], v[6:7]
	v_mul_f64 v[10:11], v[0:1], v[6:7]
	v_fma_f64 v[8:9], v[0:1], v[4:5], -v[8:9]
	v_fmac_f64_e32 v[10:11], v[2:3], v[4:5]
	global_load_dwordx4 v[4:7], v186, s[14:15] offset:704
	ds_read_b128 v[0:3], v142 offset:704
	ds_write_b128 v142, v[8:11] offset:352
	s_waitcnt vmcnt(0) lgkmcnt(1)
	v_mul_f64 v[8:9], v[2:3], v[6:7]
	v_mul_f64 v[10:11], v[0:1], v[6:7]
	v_fma_f64 v[8:9], v[0:1], v[4:5], -v[8:9]
	v_fmac_f64_e32 v[10:11], v[2:3], v[4:5]
	global_load_dwordx4 v[4:7], v186, s[14:15] offset:1056
	ds_read_b128 v[0:3], v142 offset:1056
	ds_write_b128 v142, v[8:11] offset:704
	;; [unrolled: 8-line block ×10, first 2 shown]
	s_waitcnt vmcnt(0) lgkmcnt(1)
	v_mul_f64 v[8:9], v[2:3], v[6:7]
	v_mul_f64 v[10:11], v[0:1], v[6:7]
	v_fma_f64 v[8:9], v[0:1], v[4:5], -v[8:9]
	v_fmac_f64_e32 v[10:11], v[2:3], v[4:5]
	global_load_dwordx4 v[4:7], v[12:13], off offset:128
	ds_read_b128 v[0:3], v142 offset:4224
	ds_write_b128 v142, v[8:11] offset:3872
	s_waitcnt vmcnt(0) lgkmcnt(1)
	v_mul_f64 v[8:9], v[2:3], v[6:7]
	v_mul_f64 v[10:11], v[0:1], v[6:7]
	v_fma_f64 v[8:9], v[0:1], v[4:5], -v[8:9]
	v_fmac_f64_e32 v[10:11], v[2:3], v[4:5]
	global_load_dwordx4 v[4:7], v[12:13], off offset:480
	ds_read_b128 v[0:3], v142 offset:4576
	ds_write_b128 v142, v[8:11] offset:4224
	;; [unrolled: 8-line block ×4, first 2 shown]
	s_waitcnt vmcnt(0) lgkmcnt(1)
	v_mul_f64 v[8:9], v[2:3], v[6:7]
	v_fma_f64 v[8:9], v[0:1], v[4:5], -v[8:9]
	v_mul_f64 v[10:11], v[0:1], v[6:7]
	v_or_b32_e32 v0, 0x1600, v186
	global_load_dwordx4 v[136:139], v0, s[14:15]
	v_fmac_f64_e32 v[10:11], v[2:3], v[4:5]
	ds_write_b128 v142, v[8:11] offset:5280
	s_waitcnt vmcnt(0)
	v_mul_f64 v[0:1], v[134:135], v[138:139]
	v_mul_f64 v[2:3], v[132:133], v[138:139]
	v_fma_f64 v[0:1], v[132:133], v[136:137], -v[0:1]
	v_fmac_f64_e32 v[2:3], v[134:135], v[136:137]
	ds_write_b128 v142, v[0:3] offset:5632
.LBB0_13:
	s_or_b64 exec, exec, s[10:11]
	s_waitcnt lgkmcnt(0)
	s_barrier
	s_and_saveexec_b64 s[2:3], vcc
	s_cbranch_execz .LBB0_15
; %bb.14:
	ds_read_b128 v[88:91], v142
	ds_read_b128 v[92:95], v142 offset:352
	ds_read_b128 v[96:99], v142 offset:704
	;; [unrolled: 1-line block ×16, first 2 shown]
.LBB0_15:
	s_or_b64 exec, exec, s[2:3]
	s_mov_b32 s16, 0x6c9a05f6
	s_waitcnt lgkmcnt(0)
	v_add_f64 v[196:197], v[94:95], -v[32:33]
	s_mov_b32 s2, 0x6ed5f1bb
	s_mov_b32 s17, 0xbfe9895b
	;; [unrolled: 1-line block ×3, first 2 shown]
	v_add_f64 v[190:191], v[92:93], v[30:31]
	v_add_f64 v[192:193], v[94:95], v[32:33]
	s_mov_b32 s3, 0xbfe348c8
	v_mul_f64 v[152:153], v[196:197], s[16:17]
	s_mov_b32 s22, 0x4363dd80
	v_add_f64 v[204:205], v[98:99], -v[36:37]
	s_mov_b32 s14, 0xc61f0d01
	s_mov_b32 s39, 0x3feec746
	v_add_f64 v[200:201], v[92:93], -v[30:31]
	v_mul_f64 v[154:155], v[192:193], s[2:3]
	v_fma_f64 v[0:1], v[190:191], s[2:3], -v[152:153]
	s_mov_b32 s10, 0x910ea3b9
	s_mov_b32 s23, 0xbfe0d888
	v_add_f64 v[194:195], v[96:97], v[34:35]
	v_add_f64 v[198:199], v[98:99], v[36:37]
	s_mov_b32 s15, 0xbfd183b1
	v_mul_f64 v[156:157], v[204:205], s[38:39]
	s_mov_b32 s42, 0x7c9e640b
	v_add_f64 v[0:1], v[88:89], v[0:1]
	v_fma_f64 v[2:3], s[16:17], v[200:201], v[154:155]
	s_mov_b32 s11, 0xbfeb34fa
	v_mul_f64 v[148:149], v[196:197], s[22:23]
	v_add_f64 v[208:209], v[96:97], -v[34:35]
	v_mul_f64 v[158:159], v[198:199], s[14:15]
	v_fma_f64 v[8:9], v[194:195], s[14:15], -v[156:157]
	s_mov_b32 s18, 0x2b2883cd
	s_mov_b32 s43, 0x3feca52d
	v_add_f64 v[2:3], v[90:91], v[2:3]
	v_mul_f64 v[150:151], v[192:193], s[10:11]
	v_fma_f64 v[4:5], v[190:191], s[10:11], -v[148:149]
	v_add_f64 v[0:1], v[8:9], v[0:1]
	v_fma_f64 v[8:9], s[38:39], v[208:209], v[158:159]
	s_mov_b32 s19, 0x3fdc86fa
	v_mul_f64 v[162:163], v[204:205], s[42:43]
	s_mov_b32 s28, 0x5d8e7cdc
	v_add_f64 v[4:5], v[88:89], v[4:5]
	v_fma_f64 v[6:7], s[22:23], v[200:201], v[150:151]
	v_add_f64 v[2:3], v[8:9], v[2:3]
	v_mul_f64 v[174:175], v[198:199], s[18:19]
	v_fma_f64 v[8:9], v[194:195], s[18:19], -v[162:163]
	v_add_f64 v[212:213], v[102:103], -v[40:41]
	s_mov_b32 s20, 0x370991
	s_mov_b32 s29, 0xbfd71e95
	v_add_f64 v[6:7], v[90:91], v[6:7]
	v_add_f64 v[4:5], v[8:9], v[4:5]
	v_fma_f64 v[8:9], s[42:43], v[208:209], v[174:175]
	v_add_f64 v[202:203], v[100:101], v[38:39]
	v_add_f64 v[206:207], v[102:103], v[40:41]
	s_mov_b32 s21, 0x3fedd6d0
	v_mul_f64 v[160:161], v[212:213], s[28:29]
	s_mov_b32 s30, 0xeb564b22
	v_add_f64 v[6:7], v[8:9], v[6:7]
	v_add_f64 v[218:219], v[100:101], -v[38:39]
	v_mul_f64 v[164:165], v[206:207], s[20:21]
	v_fma_f64 v[8:9], v[202:203], s[20:21], -v[160:161]
	s_mov_b32 s26, 0x3259b75e
	s_mov_b32 s31, 0xbfefdd0d
	v_add_f64 v[8:9], v[8:9], v[0:1]
	v_fma_f64 v[0:1], s[28:29], v[218:219], v[164:165]
	s_mov_b32 s27, 0x3fb79ee6
	v_mul_f64 v[172:173], v[212:213], s[30:31]
	v_add_f64 v[2:3], v[0:1], v[2:3]
	v_mul_f64 v[0:1], v[206:207], s[26:27]
	v_fma_f64 v[10:11], v[202:203], s[26:27], -v[172:173]
	v_add_f64 v[224:225], v[106:107], -v[22:23]
	v_add_f64 v[4:5], v[10:11], v[4:5]
	v_fma_f64 v[10:11], s[30:31], v[218:219], v[0:1]
	v_add_f64 v[210:211], v[104:105], v[20:21]
	v_add_f64 v[216:217], v[106:107], v[22:23]
	v_mov_b64_e32 v[26:27], v[22:23]
	v_mul_f64 v[166:167], v[224:225], s[22:23]
	v_add_f64 v[10:11], v[10:11], v[6:7]
	v_add_f64 v[230:231], v[104:105], -v[20:21]
	v_mov_b64_e32 v[24:25], v[20:21]
	v_mul_f64 v[168:169], v[216:217], s[10:11]
	v_fma_f64 v[6:7], v[210:211], s[10:11], -v[166:167]
	s_mov_b32 s53, 0x3fe9895b
	s_mov_b32 s52, s16
	v_accvgpr_read_b32 v20, a20
	v_add_f64 v[8:9], v[6:7], v[8:9]
	v_fma_f64 v[6:7], s[22:23], v[230:231], v[168:169]
	v_mul_f64 v[178:179], v[224:225], s[52:53]
	v_accvgpr_read_b32 v22, a22
	v_accvgpr_read_b32 v23, a23
	v_add_f64 v[2:3], v[6:7], v[2:3]
	v_mul_f64 v[6:7], v[216:217], s[2:3]
	v_fma_f64 v[12:13], v[210:211], s[2:3], -v[178:179]
	v_accvgpr_read_b32 v21, a21
	v_add_f64 v[228:229], v[118:119], -v[22:23]
	s_mov_b32 s56, s30
	v_add_f64 v[4:5], v[12:13], v[4:5]
	v_fma_f64 v[12:13], s[52:53], v[230:231], v[6:7]
	v_add_f64 v[214:215], v[116:117], v[20:21]
	v_add_f64 v[222:223], v[118:119], v[22:23]
	v_mul_f64 v[170:171], v[228:229], s[56:57]
	v_add_f64 v[10:11], v[12:13], v[10:11]
	v_add_f64 v[236:237], v[116:117], -v[20:21]
	v_mul_f64 v[176:177], v[222:223], s[26:27]
	v_fma_f64 v[12:13], v[214:215], s[26:27], -v[170:171]
	v_add_f64 v[8:9], v[12:13], v[8:9]
	v_fma_f64 v[12:13], s[56:57], v[236:237], v[176:177]
	v_add_f64 v[12:13], v[12:13], v[2:3]
	v_mul_f64 v[2:3], v[228:229], s[28:29]
	s_mov_b32 s40, 0x2a9d6da3
	v_mul_f64 v[14:15], v[222:223], s[20:21]
	v_fma_f64 v[16:17], v[214:215], s[20:21], -v[2:3]
	v_add_f64 v[234:235], v[130:131], -v[86:87]
	s_mov_b32 s34, 0x75d4884
	s_mov_b32 s41, 0xbfe58eea
	v_add_f64 v[4:5], v[16:17], v[4:5]
	v_fma_f64 v[16:17], s[28:29], v[236:237], v[14:15]
	v_add_f64 v[220:221], v[128:129], v[84:85]
	v_add_f64 v[226:227], v[130:131], v[86:87]
	s_mov_b32 s35, 0x3fe7a5f6
	v_mul_f64 v[180:181], v[234:235], s[40:41]
	v_add_f64 v[10:11], v[16:17], v[10:11]
	v_add_f64 v[242:243], v[128:129], -v[84:85]
	v_mul_f64 v[182:183], v[226:227], s[34:35]
	v_fma_f64 v[16:17], v[220:221], s[34:35], -v[180:181]
	s_mov_b32 s44, 0xacd6c6b4
	v_add_f64 v[16:17], v[16:17], v[8:9]
	v_fma_f64 v[8:9], s[40:41], v[242:243], v[182:183]
	s_mov_b32 s36, 0x7faef3
	s_mov_b32 s45, 0xbfc7851a
	v_add_f64 v[18:19], v[8:9], v[12:13]
	s_mov_b32 s37, 0xbfef7484
	v_mul_f64 v[12:13], v[234:235], s[44:45]
	v_mul_f64 v[188:189], v[226:227], s[36:37]
	v_fma_f64 v[8:9], v[220:221], s[36:37], -v[12:13]
	v_add_f64 v[132:133], v[8:9], v[4:5]
	v_fma_f64 v[4:5], s[44:45], v[242:243], v[188:189]
	v_add_f64 v[246:247], v[126:127], -v[110:111]
	v_add_f64 v[10:11], v[4:5], v[10:11]
	v_add_f64 v[232:233], v[124:125], v[108:109]
	;; [unrolled: 1-line block ×3, first 2 shown]
	v_mul_f64 v[4:5], v[246:247], s[44:45]
	v_add_f64 v[250:251], v[124:125], -v[108:109]
	v_mul_f64 v[8:9], v[238:239], s[36:37]
	v_fma_f64 v[134:135], v[232:233], s[36:37], -v[4:5]
	v_add_f64 v[134:135], v[134:135], v[16:17]
	v_fma_f64 v[16:17], s[44:45], v[250:251], v[8:9]
	s_mov_b32 s51, 0x3fe58eea
	s_mov_b32 s50, s40
	v_add_f64 v[18:19], v[16:17], v[18:19]
	v_mul_f64 v[16:17], v[246:247], s[50:51]
	v_mul_f64 v[254:255], v[238:239], s[34:35]
	v_fma_f64 v[136:137], v[232:233], s[34:35], -v[16:17]
	v_add_f64 v[132:133], v[136:137], v[132:133]
	v_fma_f64 v[136:137], s[50:51], v[250:251], v[254:255]
	v_add_f64 v[248:249], v[122:123], -v[114:115]
	v_add_f64 v[144:145], v[136:137], v[10:11]
	v_add_f64 v[240:241], v[120:121], v[112:113]
	;; [unrolled: 1-line block ×3, first 2 shown]
	v_mul_f64 v[10:11], v[248:249], s[42:43]
	v_add_f64 v[252:253], v[120:121], -v[112:113]
	v_mul_f64 v[184:185], v[244:245], s[18:19]
	v_fma_f64 v[136:137], v[240:241], s[18:19], -v[10:11]
	v_add_f64 v[136:137], v[136:137], v[134:135]
	v_fma_f64 v[134:135], s[42:43], v[252:253], v[184:185]
	s_mov_b32 s47, 0xbfeec746
	s_mov_b32 s46, s38
	v_add_f64 v[138:139], v[134:135], v[18:19]
	v_mul_f64 v[18:19], v[248:249], s[46:47]
	v_mul_f64 v[140:141], v[244:245], s[14:15]
	v_fma_f64 v[134:135], v[240:241], s[14:15], -v[18:19]
	v_add_f64 v[132:133], v[134:135], v[132:133]
	v_fma_f64 v[134:135], s[46:47], v[252:253], v[140:141]
	v_add_f64 v[134:135], v[134:135], v[144:145]
	s_barrier
	s_and_saveexec_b64 s[24:25], vcc
	s_cbranch_execz .LBB0_17
; %bb.16:
	v_accvgpr_write_b32 a69, v41
	s_mov_b32 s49, 0x3fd71e95
	s_mov_b32 s48, s28
	v_mul_f64 v[44:45], v[200:201], s[44:45]
	v_accvgpr_write_b32 a65, v37
	v_accvgpr_write_b32 a68, v40
	v_accvgpr_write_b32 a67, v39
	v_accvgpr_write_b32 a66, v38
	v_mul_f64 v[40:41], v[208:209], s[48:49]
	v_fma_f64 v[46:47], s[36:37], v[192:193], v[44:45]
	v_accvgpr_write_b32 a57, v33
	v_accvgpr_write_b32 a64, v36
	;; [unrolled: 1-line block ×4, first 2 shown]
	v_mul_f64 v[36:37], v[218:219], s[22:23]
	v_fma_f64 v[42:43], s[20:21], v[198:199], v[40:41]
	v_add_f64 v[46:47], v[90:91], v[46:47]
	v_accvgpr_write_b32 a56, v32
	v_accvgpr_write_b32 a55, v31
	;; [unrolled: 1-line block ×3, first 2 shown]
	v_mul_f64 v[32:33], v[230:231], s[50:51]
	v_fma_f64 v[38:39], s[10:11], v[206:207], v[36:37]
	v_add_f64 v[42:43], v[42:43], v[46:47]
	v_accvgpr_write_b32 a61, v27
	v_mul_f64 v[28:29], v[236:237], s[16:17]
	v_fma_f64 v[34:35], s[34:35], v[216:217], v[32:33]
	v_add_f64 v[38:39], v[38:39], v[42:43]
	v_accvgpr_write_b32 a53, v23
	v_accvgpr_write_b32 a60, v26
	;; [unrolled: 1-line block ×4, first 2 shown]
	v_mul_f64 v[24:25], v[242:243], s[42:43]
	v_fma_f64 v[30:31], s[2:3], v[222:223], v[28:29]
	v_add_f64 v[34:35], v[34:35], v[38:39]
	v_accvgpr_write_b32 a52, v22
	v_accvgpr_write_b32 a51, v21
	;; [unrolled: 1-line block ×3, first 2 shown]
	v_mul_f64 v[20:21], v[250:251], s[46:47]
	v_fma_f64 v[26:27], s[18:19], v[226:227], v[24:25]
	v_add_f64 v[30:31], v[30:31], v[34:35]
	v_mul_f64 v[144:145], v[252:253], s[56:57]
	v_fma_f64 v[22:23], s[14:15], v[238:239], v[20:21]
	v_add_f64 v[26:27], v[26:27], v[30:31]
	v_fma_f64 v[146:147], s[26:27], v[244:245], v[144:145]
	v_add_f64 v[22:23], v[22:23], v[26:27]
	v_accvgpr_write_b32 a20, v52
	v_accvgpr_write_b32 a21, v53
	;; [unrolled: 1-line block ×4, first 2 shown]
	v_add_f64 v[54:55], v[146:147], v[22:23]
	v_mul_f64 v[146:147], v[196:197], s[44:45]
	v_mul_f64 v[42:43], v[204:205], s[48:49]
	v_accvgpr_write_b32 a4, v48
	v_accvgpr_write_b32 a5, v49
	v_fma_f64 v[48:49], v[190:191], s[36:37], -v[146:147]
	v_mul_f64 v[38:39], v[212:213], s[22:23]
	v_fma_f64 v[46:47], v[194:195], s[20:21], -v[42:43]
	v_add_f64 v[48:49], v[88:89], v[48:49]
	v_mul_f64 v[34:35], v[224:225], s[50:51]
	v_add_f64 v[46:47], v[46:47], v[48:49]
	v_fma_f64 v[48:49], v[202:203], s[10:11], -v[38:39]
	v_mul_f64 v[30:31], v[228:229], s[16:17]
	v_add_f64 v[46:47], v[48:49], v[46:47]
	v_fma_f64 v[48:49], v[210:211], s[34:35], -v[34:35]
	;; [unrolled: 3-line block ×4, first 2 shown]
	v_add_f64 v[46:47], v[48:49], v[46:47]
	v_fma_f64 v[48:49], v[232:233], s[14:15], -v[22:23]
	v_add_f64 v[46:47], v[48:49], v[46:47]
	v_mul_f64 v[48:49], v[248:249], s[56:57]
	v_accvgpr_write_b32 a6, v50
	v_fma_f64 v[50:51], v[240:241], s[26:27], -v[48:49]
	v_fma_f64 v[44:45], v[192:193], s[36:37], -v[44:45]
	v_fmac_f64_e32 v[146:147], s[36:37], v[190:191]
	v_add_f64 v[52:53], v[50:51], v[46:47]
	v_fma_f64 v[40:41], v[198:199], s[20:21], -v[40:41]
	v_add_f64 v[44:45], v[90:91], v[44:45]
	v_fmac_f64_e32 v[42:43], s[20:21], v[194:195]
	v_add_f64 v[50:51], v[88:89], v[146:147]
	v_add_f64 v[40:41], v[40:41], v[44:45]
	v_fma_f64 v[36:37], v[206:207], s[10:11], -v[36:37]
	v_add_f64 v[42:43], v[42:43], v[50:51]
	v_fmac_f64_e32 v[38:39], s[10:11], v[202:203]
	v_add_f64 v[36:37], v[36:37], v[40:41]
	v_fma_f64 v[32:33], v[216:217], s[34:35], -v[32:33]
	v_add_f64 v[38:39], v[38:39], v[42:43]
	v_fmac_f64_e32 v[34:35], s[34:35], v[210:211]
	;; [unrolled: 4-line block ×5, first 2 shown]
	v_add_f64 v[20:21], v[20:21], v[24:25]
	v_add_f64 v[22:23], v[22:23], v[26:27]
	v_fma_f64 v[144:145], v[244:245], s[26:27], -v[144:145]
	v_fmac_f64_e32 v[48:49], s[26:27], v[240:241]
	v_mul_f64 v[36:37], v[200:201], s[22:23]
	v_add_f64 v[146:147], v[144:145], v[20:21]
	v_add_f64 v[144:145], v[48:49], v[22:23]
	v_mul_f64 v[22:23], v[252:253], s[46:47]
	v_mul_f64 v[50:51], v[208:209], s[42:43]
	v_add_f64 v[22:23], v[140:141], -v[22:23]
	v_mul_f64 v[140:141], v[242:243], s[44:45]
	v_add_f64 v[36:37], v[150:151], -v[36:37]
	;; [unrolled: 2-line block ×4, first 2 shown]
	v_add_f64 v[36:37], v[90:91], v[36:37]
	v_add_f64 v[14:15], v[14:15], -v[188:189]
	v_mul_f64 v[188:189], v[230:231], s[52:53]
	v_add_f64 v[0:1], v[0:1], -v[30:31]
	v_add_f64 v[36:37], v[50:51], v[36:37]
	v_add_f64 v[6:7], v[6:7], -v[188:189]
	v_add_f64 v[0:1], v[0:1], v[36:37]
	v_add_f64 v[0:1], v[6:7], v[0:1]
	v_mul_f64 v[48:49], v[250:251], s[50:51]
	v_add_f64 v[0:1], v[14:15], v[0:1]
	v_add_f64 v[48:49], v[254:255], -v[48:49]
	v_add_f64 v[0:1], v[140:141], v[0:1]
	v_mul_f64 v[40:41], v[190:191], s[10:11]
	v_mul_f64 v[34:35], v[202:203], s[26:27]
	v_add_f64 v[0:1], v[48:49], v[0:1]
	v_mul_f64 v[24:25], v[194:195], s[18:19]
	v_add_f64 v[150:151], v[22:23], v[0:1]
	v_add_f64 v[22:23], v[34:35], v[172:173]
	v_add_f64 v[34:35], v[40:41], v[148:149]
	v_add_f64 v[24:25], v[24:25], v[162:163]
	v_add_f64 v[34:35], v[88:89], v[34:35]
	v_mul_f64 v[188:189], v[210:211], s[2:3]
	v_mul_f64 v[254:255], v[214:215], s[20:21]
	v_add_f64 v[24:25], v[24:25], v[34:35]
	v_add_f64 v[0:1], v[254:255], v[2:3]
	;; [unrolled: 1-line block ×4, first 2 shown]
	v_mul_f64 v[6:7], v[220:221], s[36:37]
	v_mul_f64 v[48:49], v[240:241], s[14:15]
	v_add_f64 v[2:3], v[2:3], v[22:23]
	v_add_f64 v[18:19], v[48:49], v[18:19]
	v_mul_f64 v[48:49], v[232:233], s[34:35]
	v_add_f64 v[6:7], v[6:7], v[12:13]
	v_add_f64 v[0:1], v[0:1], v[2:3]
	;; [unrolled: 1-line block ×4, first 2 shown]
	v_mul_f64 v[44:45], v[200:201], s[16:17]
	v_mul_f64 v[20:21], v[230:231], s[22:23]
	;; [unrolled: 1-line block ×3, first 2 shown]
	v_add_f64 v[0:1], v[16:17], v[0:1]
	v_mul_f64 v[28:29], v[208:209], s[38:39]
	v_add_f64 v[148:149], v[18:19], v[0:1]
	v_add_f64 v[0:1], v[184:185], -v[12:13]
	v_add_f64 v[12:13], v[168:169], -v[20:21]
	;; [unrolled: 1-line block ×3, first 2 shown]
	v_mul_f64 v[38:39], v[218:219], s[28:29]
	v_add_f64 v[18:19], v[158:159], -v[28:29]
	v_add_f64 v[20:21], v[90:91], v[20:21]
	v_add_f64 v[16:17], v[164:165], -v[38:39]
	v_add_f64 v[18:19], v[18:19], v[20:21]
	v_mul_f64 v[174:175], v[236:237], s[56:57]
	v_mul_f64 v[140:141], v[250:251], s[44:45]
	v_add_f64 v[16:17], v[16:17], v[18:19]
	v_mul_f64 v[36:37], v[242:243], s[40:41]
	v_add_f64 v[2:3], v[8:9], -v[140:141]
	v_add_f64 v[8:9], v[176:177], -v[174:175]
	v_add_f64 v[12:13], v[12:13], v[16:17]
	v_add_f64 v[6:7], v[182:183], -v[36:37]
	v_add_f64 v[8:9], v[8:9], v[12:13]
	v_add_f64 v[6:7], v[6:7], v[8:9]
	v_mul_f64 v[46:47], v[190:191], s[2:3]
	v_mul_f64 v[14:15], v[232:233], s[36:37]
	v_add_f64 v[2:3], v[2:3], v[6:7]
	v_mul_f64 v[32:33], v[194:195], s[14:15]
	v_add_f64 v[154:155], v[0:1], v[2:3]
	v_add_f64 v[2:3], v[14:15], v[4:5]
	;; [unrolled: 1-line block ×3, first 2 shown]
	v_mul_f64 v[42:43], v[202:203], s[20:21]
	v_mul_f64 v[30:31], v[214:215], s[26:27]
	;; [unrolled: 1-line block ×3, first 2 shown]
	v_add_f64 v[12:13], v[32:33], v[156:157]
	v_add_f64 v[14:15], v[88:89], v[14:15]
	s_mov_b32 s59, 0x3fe0d888
	s_mov_b32 s58, s22
	v_mul_f64 v[28:29], v[200:201], s[46:47]
	v_mul_f64 v[26:27], v[210:211], s[10:11]
	v_add_f64 v[0:1], v[48:49], v[10:11]
	v_add_f64 v[6:7], v[30:31], v[170:171]
	;; [unrolled: 1-line block ×4, first 2 shown]
	v_mul_f64 v[24:25], v[208:209], s[58:59]
	v_fma_f64 v[30:31], s[14:15], v[192:193], v[28:29]
	v_add_f64 v[8:9], v[26:27], v[166:167]
	v_add_f64 v[10:11], v[10:11], v[12:13]
	s_mov_b32 s55, 0xbfeca52d
	s_mov_b32 s54, s42
	v_mul_f64 v[20:21], v[218:219], s[50:51]
	v_fma_f64 v[26:27], s[10:11], v[198:199], v[24:25]
	v_add_f64 v[30:31], v[90:91], v[30:31]
	v_mul_f64 v[44:45], v[196:197], s[46:47]
	v_mul_f64 v[50:51], v[220:221], s[34:35]
	v_add_f64 v[8:9], v[8:9], v[10:11]
	v_mul_f64 v[16:17], v[230:231], s[54:55]
	v_fma_f64 v[22:23], s[34:35], v[206:207], v[20:21]
	v_add_f64 v[26:27], v[26:27], v[30:31]
	v_mul_f64 v[40:41], v[204:205], s[58:59]
	v_fma_f64 v[46:47], v[190:191], s[14:15], -v[44:45]
	v_add_f64 v[4:5], v[50:51], v[180:181]
	v_add_f64 v[6:7], v[6:7], v[8:9]
	v_mul_f64 v[12:13], v[236:237], s[44:45]
	v_fma_f64 v[18:19], s[18:19], v[216:217], v[16:17]
	v_add_f64 v[22:23], v[22:23], v[26:27]
	v_mul_f64 v[36:37], v[212:213], s[50:51]
	v_fma_f64 v[42:43], v[194:195], s[10:11], -v[40:41]
	v_add_f64 v[46:47], v[88:89], v[46:47]
	;; [unrolled: 7-line block ×5, first 2 shown]
	v_fma_f64 v[2:3], s[2:3], v[244:245], v[0:1]
	v_add_f64 v[6:7], v[6:7], v[10:11]
	v_mul_f64 v[10:11], v[246:247], s[28:29]
	v_fma_f64 v[22:23], v[220:221], s[26:27], -v[18:19]
	v_add_f64 v[30:31], v[30:31], v[34:35]
	v_add_f64 v[158:159], v[2:3], v[6:7]
	v_mul_f64 v[2:3], v[248:249], s[16:17]
	v_fma_f64 v[14:15], v[232:233], s[20:21], -v[10:11]
	v_add_f64 v[22:23], v[22:23], v[30:31]
	v_fma_f64 v[6:7], v[240:241], s[2:3], -v[2:3]
	v_add_f64 v[14:15], v[14:15], v[22:23]
	v_add_f64 v[156:157], v[6:7], v[14:15]
	v_fma_f64 v[14:15], v[206:207], s[34:35], -v[20:21]
	v_fma_f64 v[20:21], v[192:193], s[14:15], -v[28:29]
	;; [unrolled: 1-line block ×6, first 2 shown]
	v_add_f64 v[20:21], v[90:91], v[20:21]
	v_add_f64 v[16:17], v[16:17], v[20:21]
	;; [unrolled: 1-line block ×5, first 2 shown]
	v_fma_f64 v[4:5], v[238:239], s[20:21], -v[4:5]
	v_add_f64 v[6:7], v[6:7], v[8:9]
	v_fma_f64 v[0:1], v[244:245], s[2:3], -v[0:1]
	v_add_f64 v[4:5], v[4:5], v[6:7]
	v_fmac_f64_e32 v[44:45], s[14:15], v[190:191]
	v_add_f64 v[162:163], v[0:1], v[4:5]
	v_fmac_f64_e32 v[40:41], s[10:11], v[194:195]
	;; [unrolled: 2-line block ×4, first 2 shown]
	v_add_f64 v[0:1], v[36:37], v[0:1]
	v_mul_f64 v[28:29], v[200:201], s[30:31]
	v_fmac_f64_e32 v[26:27], s[36:37], v[214:215]
	v_add_f64 v[0:1], v[32:33], v[0:1]
	v_mul_f64 v[24:25], v[208:209], s[44:45]
	v_fma_f64 v[30:31], s[26:27], v[192:193], v[28:29]
	v_add_f64 v[0:1], v[26:27], v[0:1]
	v_mul_f64 v[20:21], v[218:219], s[38:39]
	v_fma_f64 v[26:27], s[36:37], v[198:199], v[24:25]
	v_add_f64 v[30:31], v[90:91], v[30:31]
	v_mul_f64 v[44:45], v[196:197], s[30:31]
	v_fmac_f64_e32 v[18:19], s[26:27], v[220:221]
	v_mul_f64 v[16:17], v[230:231], s[48:49]
	v_fma_f64 v[22:23], s[14:15], v[206:207], v[20:21]
	v_add_f64 v[26:27], v[26:27], v[30:31]
	v_mul_f64 v[40:41], v[204:205], s[44:45]
	v_fma_f64 v[46:47], v[190:191], s[26:27], -v[44:45]
	v_add_f64 v[0:1], v[18:19], v[0:1]
	v_mul_f64 v[12:13], v[236:237], s[54:55]
	v_fma_f64 v[18:19], s[20:21], v[216:217], v[16:17]
	v_add_f64 v[22:23], v[22:23], v[26:27]
	v_mul_f64 v[36:37], v[212:213], s[38:39]
	v_fma_f64 v[42:43], v[194:195], s[36:37], -v[40:41]
	v_add_f64 v[46:47], v[88:89], v[46:47]
	v_fmac_f64_e32 v[10:11], s[20:21], v[232:233]
	v_mul_f64 v[8:9], v[242:243], s[22:23]
	v_fma_f64 v[14:15], s[18:19], v[222:223], v[12:13]
	v_add_f64 v[18:19], v[18:19], v[22:23]
	v_mul_f64 v[32:33], v[224:225], s[48:49]
	v_fma_f64 v[38:39], v[202:203], s[14:15], -v[36:37]
	v_add_f64 v[42:43], v[42:43], v[46:47]
	v_fmac_f64_e32 v[2:3], s[2:3], v[240:241]
	v_add_f64 v[0:1], v[10:11], v[0:1]
	v_mul_f64 v[4:5], v[250:251], s[52:53]
	v_fma_f64 v[10:11], s[10:11], v[226:227], v[8:9]
	v_add_f64 v[14:15], v[14:15], v[18:19]
	v_mul_f64 v[26:27], v[228:229], s[54:55]
	v_fma_f64 v[34:35], v[210:211], s[20:21], -v[32:33]
	v_add_f64 v[38:39], v[38:39], v[42:43]
	v_add_f64 v[160:161], v[2:3], v[0:1]
	v_mul_f64 v[0:1], v[252:253], s[50:51]
	v_fma_f64 v[6:7], s[2:3], v[238:239], v[4:5]
	v_add_f64 v[10:11], v[10:11], v[14:15]
	v_mul_f64 v[18:19], v[234:235], s[22:23]
	v_fma_f64 v[30:31], v[214:215], s[18:19], -v[26:27]
	v_add_f64 v[34:35], v[34:35], v[38:39]
	v_fma_f64 v[2:3], s[34:35], v[244:245], v[0:1]
	v_add_f64 v[6:7], v[6:7], v[10:11]
	v_mul_f64 v[10:11], v[246:247], s[52:53]
	v_fma_f64 v[22:23], v[220:221], s[10:11], -v[18:19]
	v_add_f64 v[30:31], v[30:31], v[34:35]
	v_add_f64 v[166:167], v[2:3], v[6:7]
	v_mul_f64 v[2:3], v[248:249], s[50:51]
	v_fma_f64 v[14:15], v[232:233], s[2:3], -v[10:11]
	v_add_f64 v[22:23], v[22:23], v[30:31]
	v_fma_f64 v[6:7], v[240:241], s[34:35], -v[2:3]
	v_add_f64 v[14:15], v[14:15], v[22:23]
	v_add_f64 v[164:165], v[6:7], v[14:15]
	v_fma_f64 v[14:15], v[206:207], s[14:15], -v[20:21]
	v_fma_f64 v[20:21], v[192:193], s[26:27], -v[28:29]
	;; [unrolled: 1-line block ×6, first 2 shown]
	v_add_f64 v[20:21], v[90:91], v[20:21]
	v_add_f64 v[16:17], v[16:17], v[20:21]
	;; [unrolled: 1-line block ×5, first 2 shown]
	v_fma_f64 v[4:5], v[238:239], s[2:3], -v[4:5]
	v_add_f64 v[6:7], v[6:7], v[8:9]
	v_fma_f64 v[0:1], v[244:245], s[34:35], -v[0:1]
	v_add_f64 v[4:5], v[4:5], v[6:7]
	v_fmac_f64_e32 v[44:45], s[26:27], v[190:191]
	v_add_f64 v[174:175], v[0:1], v[4:5]
	v_fmac_f64_e32 v[40:41], s[36:37], v[194:195]
	;; [unrolled: 2-line block ×4, first 2 shown]
	v_add_f64 v[0:1], v[36:37], v[0:1]
	v_mul_f64 v[28:29], v[200:201], s[54:55]
	v_fmac_f64_e32 v[26:27], s[18:19], v[214:215]
	v_add_f64 v[0:1], v[32:33], v[0:1]
	s_mov_b32 s53, 0x3fc7851a
	s_mov_b32 s52, s44
	v_mul_f64 v[24:25], v[208:209], s[16:17]
	v_fma_f64 v[30:31], s[18:19], v[192:193], v[28:29]
	v_add_f64 v[0:1], v[26:27], v[0:1]
	v_mul_f64 v[20:21], v[218:219], s[52:53]
	v_fma_f64 v[26:27], s[2:3], v[198:199], v[24:25]
	v_add_f64 v[30:31], v[90:91], v[30:31]
	v_mul_f64 v[44:45], v[196:197], s[54:55]
	v_fmac_f64_e32 v[18:19], s[10:11], v[220:221]
	v_mul_f64 v[16:17], v[230:231], s[38:39]
	v_fma_f64 v[22:23], s[36:37], v[206:207], v[20:21]
	v_add_f64 v[26:27], v[26:27], v[30:31]
	v_mul_f64 v[40:41], v[204:205], s[16:17]
	v_fma_f64 v[46:47], v[190:191], s[18:19], -v[44:45]
	v_add_f64 v[0:1], v[18:19], v[0:1]
	v_mul_f64 v[12:13], v[236:237], s[50:51]
	v_fma_f64 v[18:19], s[14:15], v[216:217], v[16:17]
	v_add_f64 v[22:23], v[22:23], v[26:27]
	v_mul_f64 v[36:37], v[212:213], s[52:53]
	v_fma_f64 v[42:43], v[194:195], s[2:3], -v[40:41]
	v_add_f64 v[46:47], v[88:89], v[46:47]
	v_fmac_f64_e32 v[10:11], s[2:3], v[232:233]
	v_mul_f64 v[8:9], v[242:243], s[28:29]
	v_fma_f64 v[14:15], s[34:35], v[222:223], v[12:13]
	v_add_f64 v[18:19], v[18:19], v[22:23]
	v_mul_f64 v[32:33], v[224:225], s[38:39]
	v_fma_f64 v[38:39], v[202:203], s[36:37], -v[36:37]
	v_add_f64 v[42:43], v[42:43], v[46:47]
	v_fmac_f64_e32 v[2:3], s[34:35], v[240:241]
	v_add_f64 v[0:1], v[10:11], v[0:1]
	v_mul_f64 v[4:5], v[250:251], s[30:31]
	v_fma_f64 v[10:11], s[20:21], v[226:227], v[8:9]
	v_add_f64 v[14:15], v[14:15], v[18:19]
	v_mul_f64 v[26:27], v[228:229], s[50:51]
	v_fma_f64 v[34:35], v[210:211], s[14:15], -v[32:33]
	v_add_f64 v[38:39], v[38:39], v[42:43]
	v_add_f64 v[172:173], v[2:3], v[0:1]
	v_mul_f64 v[0:1], v[252:253], s[22:23]
	v_fma_f64 v[6:7], s[26:27], v[238:239], v[4:5]
	v_add_f64 v[10:11], v[10:11], v[14:15]
	v_mul_f64 v[18:19], v[234:235], s[28:29]
	v_fma_f64 v[30:31], v[214:215], s[34:35], -v[26:27]
	v_add_f64 v[34:35], v[34:35], v[38:39]
	v_fma_f64 v[2:3], s[10:11], v[244:245], v[0:1]
	v_add_f64 v[6:7], v[6:7], v[10:11]
	v_mul_f64 v[10:11], v[246:247], s[30:31]
	v_fma_f64 v[22:23], v[220:221], s[20:21], -v[18:19]
	v_add_f64 v[30:31], v[30:31], v[34:35]
	v_add_f64 v[170:171], v[2:3], v[6:7]
	v_mul_f64 v[2:3], v[248:249], s[22:23]
	v_fma_f64 v[14:15], v[232:233], s[26:27], -v[10:11]
	v_add_f64 v[22:23], v[22:23], v[30:31]
	v_fma_f64 v[6:7], v[240:241], s[10:11], -v[2:3]
	v_add_f64 v[14:15], v[14:15], v[22:23]
	v_add_f64 v[168:169], v[6:7], v[14:15]
	v_fma_f64 v[14:15], v[206:207], s[36:37], -v[20:21]
	v_fma_f64 v[20:21], v[192:193], s[18:19], -v[28:29]
	;; [unrolled: 1-line block ×6, first 2 shown]
	v_add_f64 v[20:21], v[90:91], v[20:21]
	v_add_f64 v[16:17], v[16:17], v[20:21]
	;; [unrolled: 1-line block ×5, first 2 shown]
	v_fma_f64 v[4:5], v[238:239], s[26:27], -v[4:5]
	v_add_f64 v[6:7], v[6:7], v[8:9]
	v_fma_f64 v[0:1], v[244:245], s[10:11], -v[0:1]
	v_add_f64 v[4:5], v[4:5], v[6:7]
	v_fmac_f64_e32 v[44:45], s[18:19], v[190:191]
	v_add_f64 v[182:183], v[0:1], v[4:5]
	v_fmac_f64_e32 v[40:41], s[2:3], v[194:195]
	;; [unrolled: 2-line block ×4, first 2 shown]
	v_add_f64 v[0:1], v[36:37], v[0:1]
	v_mul_f64 v[28:29], v[200:201], s[40:41]
	v_fmac_f64_e32 v[26:27], s[34:35], v[214:215]
	v_add_f64 v[0:1], v[32:33], v[0:1]
	v_mul_f64 v[24:25], v[208:209], s[30:31]
	v_fma_f64 v[30:31], s[34:35], v[192:193], v[28:29]
	v_add_f64 v[0:1], v[26:27], v[0:1]
	v_mul_f64 v[20:21], v[218:219], s[16:17]
	v_fma_f64 v[26:27], s[26:27], v[198:199], v[24:25]
	v_add_f64 v[30:31], v[90:91], v[30:31]
	v_mul_f64 v[44:45], v[196:197], s[40:41]
	v_fmac_f64_e32 v[18:19], s[20:21], v[220:221]
	v_mul_f64 v[16:17], v[230:231], s[44:45]
	v_fma_f64 v[22:23], s[2:3], v[206:207], v[20:21]
	v_add_f64 v[26:27], v[26:27], v[30:31]
	v_mul_f64 v[40:41], v[204:205], s[30:31]
	v_fma_f64 v[46:47], v[190:191], s[34:35], -v[44:45]
	v_add_f64 v[0:1], v[18:19], v[0:1]
	v_mul_f64 v[12:13], v[236:237], s[58:59]
	v_fma_f64 v[18:19], s[36:37], v[216:217], v[16:17]
	v_add_f64 v[22:23], v[22:23], v[26:27]
	v_mul_f64 v[36:37], v[212:213], s[16:17]
	v_fma_f64 v[42:43], v[194:195], s[26:27], -v[40:41]
	v_add_f64 v[46:47], v[88:89], v[46:47]
	v_fmac_f64_e32 v[10:11], s[26:27], v[232:233]
	v_mul_f64 v[8:9], v[242:243], s[38:39]
	v_fma_f64 v[14:15], s[10:11], v[222:223], v[12:13]
	v_add_f64 v[18:19], v[18:19], v[22:23]
	v_mul_f64 v[32:33], v[224:225], s[44:45]
	v_fma_f64 v[38:39], v[202:203], s[2:3], -v[36:37]
	v_add_f64 v[42:43], v[42:43], v[46:47]
	v_fmac_f64_e32 v[2:3], s[10:11], v[240:241]
	v_add_f64 v[0:1], v[10:11], v[0:1]
	v_mul_f64 v[4:5], v[250:251], s[42:43]
	v_fma_f64 v[10:11], s[14:15], v[226:227], v[8:9]
	v_add_f64 v[14:15], v[14:15], v[18:19]
	v_mul_f64 v[26:27], v[228:229], s[58:59]
	v_fma_f64 v[34:35], v[210:211], s[36:37], -v[32:33]
	v_add_f64 v[38:39], v[38:39], v[42:43]
	v_add_f64 v[180:181], v[2:3], v[0:1]
	v_mul_f64 v[0:1], v[252:253], s[48:49]
	v_fma_f64 v[6:7], s[18:19], v[238:239], v[4:5]
	v_add_f64 v[10:11], v[10:11], v[14:15]
	v_mul_f64 v[18:19], v[234:235], s[38:39]
	v_fma_f64 v[30:31], v[214:215], s[10:11], -v[26:27]
	v_add_f64 v[34:35], v[34:35], v[38:39]
	v_fma_f64 v[2:3], s[20:21], v[244:245], v[0:1]
	v_add_f64 v[6:7], v[6:7], v[10:11]
	v_mul_f64 v[10:11], v[246:247], s[42:43]
	v_fma_f64 v[22:23], v[220:221], s[14:15], -v[18:19]
	v_add_f64 v[30:31], v[30:31], v[34:35]
	v_add_f64 v[178:179], v[2:3], v[6:7]
	v_mul_f64 v[6:7], v[248:249], s[48:49]
	v_fma_f64 v[14:15], v[232:233], s[18:19], -v[10:11]
	v_add_f64 v[22:23], v[22:23], v[30:31]
	v_fma_f64 v[2:3], v[240:241], s[20:21], -v[6:7]
	v_add_f64 v[14:15], v[14:15], v[22:23]
	v_add_f64 v[176:177], v[2:3], v[14:15]
	v_fma_f64 v[14:15], v[206:207], s[2:3], -v[20:21]
	v_fma_f64 v[20:21], v[192:193], s[34:35], -v[28:29]
	;; [unrolled: 1-line block ×7, first 2 shown]
	v_add_f64 v[20:21], v[90:91], v[20:21]
	v_add_f64 v[16:17], v[16:17], v[20:21]
	;; [unrolled: 1-line block ×6, first 2 shown]
	v_fma_f64 v[0:1], v[244:245], s[20:21], -v[0:1]
	v_add_f64 v[2:3], v[2:3], v[4:5]
	v_fmac_f64_e32 v[44:45], s[34:35], v[190:191]
	v_add_f64 v[2:3], v[0:1], v[2:3]
	v_fmac_f64_e32 v[40:41], s[26:27], v[194:195]
	;; [unrolled: 2-line block ×4, first 2 shown]
	v_add_f64 v[0:1], v[36:37], v[0:1]
	v_add_f64 v[0:1], v[32:33], v[0:1]
	v_mul_f64 v[32:33], v[200:201], s[28:29]
	v_mul_f64 v[28:29], v[208:209], s[40:41]
	v_fma_f64 v[34:35], s[20:21], v[192:193], v[32:33]
	v_mul_f64 v[50:51], v[196:197], s[28:29]
	v_fmac_f64_e32 v[26:27], s[10:11], v[214:215]
	v_mul_f64 v[24:25], v[218:219], s[54:55]
	v_fma_f64 v[30:31], s[34:35], v[198:199], v[28:29]
	v_add_f64 v[34:35], v[90:91], v[34:35]
	v_mul_f64 v[46:47], v[204:205], s[40:41]
	v_fma_f64 v[140:141], v[190:191], s[20:21], -v[50:51]
	v_add_f64 v[0:1], v[26:27], v[0:1]
	v_mul_f64 v[20:21], v[230:231], s[30:31]
	v_fma_f64 v[26:27], s[18:19], v[206:207], v[24:25]
	v_add_f64 v[30:31], v[30:31], v[34:35]
	v_mul_f64 v[42:43], v[212:213], s[54:55]
	v_fma_f64 v[48:49], v[194:195], s[34:35], -v[46:47]
	v_add_f64 v[140:141], v[88:89], v[140:141]
	v_fmac_f64_e32 v[18:19], s[14:15], v[220:221]
	v_mul_f64 v[16:17], v[236:237], s[46:47]
	v_fma_f64 v[22:23], s[26:27], v[216:217], v[20:21]
	v_add_f64 v[26:27], v[26:27], v[30:31]
	v_mul_f64 v[38:39], v[224:225], s[30:31]
	v_fma_f64 v[44:45], v[202:203], s[18:19], -v[42:43]
	v_add_f64 v[48:49], v[48:49], v[140:141]
	v_fmac_f64_e32 v[10:11], s[18:19], v[232:233]
	v_add_f64 v[0:1], v[18:19], v[0:1]
	v_mul_f64 v[12:13], v[242:243], s[16:17]
	v_fma_f64 v[18:19], s[14:15], v[222:223], v[16:17]
	v_add_f64 v[22:23], v[22:23], v[26:27]
	v_mul_f64 v[34:35], v[228:229], s[46:47]
	v_fma_f64 v[40:41], v[210:211], s[26:27], -v[38:39]
	v_add_f64 v[44:45], v[44:45], v[48:49]
	v_fmac_f64_e32 v[6:7], s[20:21], v[240:241]
	v_add_f64 v[0:1], v[10:11], v[0:1]
	v_mul_f64 v[10:11], v[250:251], s[22:23]
	v_fma_f64 v[14:15], s[2:3], v[226:227], v[12:13]
	v_add_f64 v[18:19], v[18:19], v[22:23]
	v_mul_f64 v[26:27], v[234:235], s[16:17]
	v_fma_f64 v[36:37], v[214:215], s[14:15], -v[34:35]
	v_add_f64 v[40:41], v[40:41], v[44:45]
	v_add_f64 v[0:1], v[6:7], v[0:1]
	v_mul_f64 v[8:9], v[252:253], s[44:45]
	v_fma_f64 v[6:7], s[10:11], v[238:239], v[10:11]
	v_add_f64 v[14:15], v[14:15], v[18:19]
	v_mul_f64 v[18:19], v[246:247], s[22:23]
	v_fma_f64 v[30:31], v[220:221], s[2:3], -v[26:27]
	v_add_f64 v[36:37], v[36:37], v[40:41]
	v_fma_f64 v[4:5], s[36:37], v[244:245], v[8:9]
	v_add_f64 v[6:7], v[6:7], v[14:15]
	v_mul_f64 v[14:15], v[248:249], s[44:45]
	v_fma_f64 v[22:23], v[232:233], s[10:11], -v[18:19]
	v_add_f64 v[30:31], v[30:31], v[36:37]
	v_add_f64 v[6:7], v[4:5], v[6:7]
	v_fma_f64 v[4:5], v[240:241], s[36:37], -v[14:15]
	v_add_f64 v[22:23], v[22:23], v[30:31]
	v_add_f64 v[4:5], v[4:5], v[22:23]
	v_fma_f64 v[22:23], v[206:207], s[18:19], -v[24:25]
	v_fma_f64 v[24:25], v[198:199], s[34:35], -v[28:29]
	;; [unrolled: 1-line block ×3, first 2 shown]
	v_add_f64 v[28:29], v[90:91], v[28:29]
	v_add_f64 v[24:25], v[24:25], v[28:29]
	v_fma_f64 v[20:21], v[216:217], s[26:27], -v[20:21]
	v_add_f64 v[22:23], v[22:23], v[24:25]
	v_fma_f64 v[16:17], v[222:223], s[14:15], -v[16:17]
	v_add_f64 v[20:21], v[20:21], v[22:23]
	v_fma_f64 v[12:13], v[226:227], s[2:3], -v[12:13]
	v_add_f64 v[16:17], v[16:17], v[20:21]
	v_fma_f64 v[10:11], v[238:239], s[10:11], -v[10:11]
	v_add_f64 v[12:13], v[12:13], v[16:17]
	v_add_f64 v[10:11], v[10:11], v[12:13]
	;; [unrolled: 1-line block ×4, first 2 shown]
	v_fma_f64 v[8:9], v[244:245], s[36:37], -v[8:9]
	v_fmac_f64_e32 v[50:51], s[20:21], v[190:191]
	v_add_f64 v[12:13], v[12:13], v[102:103]
	v_add_f64 v[10:11], v[8:9], v[10:11]
	v_fmac_f64_e32 v[46:47], s[34:35], v[194:195]
	v_add_f64 v[8:9], v[88:89], v[50:51]
	v_add_f64 v[12:13], v[12:13], v[106:107]
	;; [unrolled: 3-line block ×7, first 2 shown]
	v_add_f64 v[8:9], v[18:19], v[8:9]
	v_add_f64 v[12:13], v[12:13], v[110:111]
	v_accvgpr_read_b32 v16, a50
	v_add_f64 v[12:13], v[12:13], v[86:87]
	v_accvgpr_read_b32 v18, a52
	v_accvgpr_read_b32 v19, a53
	v_accvgpr_read_b32 v22, a58
	v_add_f64 v[12:13], v[12:13], v[18:19]
	v_accvgpr_read_b32 v24, a60
	v_accvgpr_read_b32 v25, a61
	;; [unrolled: 4-line block ×4, first 2 shown]
	v_accvgpr_read_b32 v18, a54
	v_fmac_f64_e32 v[14:15], s[36:37], v[240:241]
	v_add_f64 v[12:13], v[12:13], v[26:27]
	v_accvgpr_read_b32 v20, a56
	v_accvgpr_read_b32 v21, a57
	v_add_f64 v[8:9], v[14:15], v[8:9]
	v_add_f64 v[14:15], v[12:13], v[20:21]
	;; [unrolled: 1-line block ×12, first 2 shown]
	v_accvgpr_read_b32 v17, a51
	v_add_f64 v[12:13], v[12:13], v[84:85]
	v_accvgpr_read_b32 v23, a59
	v_add_f64 v[12:13], v[12:13], v[16:17]
	v_accvgpr_read_b32 v29, a67
	v_add_f64 v[12:13], v[12:13], v[22:23]
	v_accvgpr_read_b32 v25, a63
	v_add_f64 v[12:13], v[12:13], v[28:29]
	v_accvgpr_write_b32 a16, v52
	v_accvgpr_read_b32 v19, a55
	v_add_f64 v[12:13], v[12:13], v[24:25]
	v_accvgpr_read_b32 v16, a3
	v_accvgpr_write_b32 a17, v53
	v_accvgpr_write_b32 a18, v54
	;; [unrolled: 1-line block ×3, first 2 shown]
	v_accvgpr_read_b32 v55, a23
	v_add_f64 v[12:13], v[12:13], v[18:19]
	v_lshl_add_u32 v16, v16, 4, v187
	v_accvgpr_read_b32 v54, a22
	v_accvgpr_read_b32 v53, a21
	;; [unrolled: 1-line block ×6, first 2 shown]
	ds_write_b128 v16, v[12:15]
	ds_write_b128 v16, v[8:11] offset:16
	ds_write_b128 v16, v[0:3] offset:32
	;; [unrolled: 1-line block ×8, first 2 shown]
	v_accvgpr_read_b32 v146, a0
	ds_write_b128 v16, a[16:19] offset:144
	ds_write_b128 v16, v[132:135] offset:160
	;; [unrolled: 1-line block ×8, first 2 shown]
.LBB0_17:
	s_or_b64 exec, exec, s[24:25]
	s_waitcnt lgkmcnt(0)
	s_barrier
	ds_read_b128 v[16:19], v143
	ds_read_b128 v[12:15], v143 offset:544
	ds_read_b128 v[96:99], v143 offset:3536
	;; [unrolled: 1-line block ×9, first 2 shown]
	s_and_saveexec_b64 s[2:3], s[0:1]
	s_cbranch_execz .LBB0_19
; %bb.18:
	ds_read_b128 v[132:135], v143 offset:2720
	ds_read_b128 v[136:139], v143 offset:5712
.LBB0_19:
	s_or_b64 exec, exec, s[2:3]
	v_accvgpr_read_b32 v24, a32
	v_accvgpr_read_b32 v26, a34
	;; [unrolled: 1-line block ×5, first 2 shown]
	s_waitcnt lgkmcnt(3)
	v_mul_f64 v[20:21], v[26:27], v[102:103]
	v_mul_f64 v[22:23], v[26:27], v[100:101]
	v_accvgpr_read_b32 v32, a30
	v_accvgpr_read_b32 v34, a40
	v_fmac_f64_e32 v[20:21], v[24:25], v[100:101]
	v_fma_f64 v[22:23], v[24:25], v[102:103], -v[22:23]
	v_accvgpr_read_b32 v31, a29
	v_accvgpr_read_b32 v30, a28
	v_mul_f64 v[28:29], v[32:33], v[98:99]
	v_mul_f64 v[24:25], v[32:33], v[96:97]
	v_accvgpr_read_b32 v36, a42
	v_accvgpr_read_b32 v37, a43
	v_accvgpr_read_b32 v41, a39
	v_fmac_f64_e32 v[28:29], v[30:31], v[96:97]
	v_fma_f64 v[30:31], v[30:31], v[98:99], -v[24:25]
	v_accvgpr_read_b32 v35, a41
	v_mul_f64 v[32:33], v[36:37], v[90:91]
	v_mul_f64 v[24:25], v[36:37], v[88:89]
	v_accvgpr_read_b32 v40, a38
	v_accvgpr_read_b32 v42, a44
	v_fmac_f64_e32 v[32:33], v[34:35], v[88:89]
	v_fma_f64 v[34:35], v[34:35], v[90:91], -v[24:25]
	v_accvgpr_read_b32 v39, a37
	v_accvgpr_read_b32 v38, a36
	s_waitcnt lgkmcnt(1)
	v_mul_f64 v[36:37], v[40:41], v[94:95]
	v_mul_f64 v[24:25], v[40:41], v[92:93]
	v_accvgpr_read_b32 v44, a46
	v_accvgpr_read_b32 v45, a47
	v_fmac_f64_e32 v[36:37], v[38:39], v[92:93]
	v_fma_f64 v[38:39], v[38:39], v[94:95], -v[24:25]
	v_accvgpr_read_b32 v43, a45
	s_waitcnt lgkmcnt(0)
	v_mul_f64 v[40:41], v[44:45], v[86:87]
	v_mul_f64 v[24:25], v[44:45], v[84:85]
	v_fmac_f64_e32 v[40:41], v[42:43], v[84:85]
	v_fma_f64 v[42:43], v[42:43], v[86:87], -v[24:25]
	v_add_f64 v[24:25], v[16:17], -v[20:21]
	v_add_f64 v[26:27], v[18:19], -v[22:23]
	v_fma_f64 v[16:17], v[16:17], 2.0, -v[24:25]
	v_fma_f64 v[18:19], v[18:19], 2.0, -v[26:27]
	v_add_f64 v[28:29], v[12:13], -v[28:29]
	v_add_f64 v[30:31], v[14:15], -v[30:31]
	v_accvgpr_read_b32 v20, a48
	v_fma_f64 v[12:13], v[12:13], 2.0, -v[28:29]
	v_fma_f64 v[14:15], v[14:15], 2.0, -v[30:31]
	v_add_f64 v[32:33], v[8:9], -v[32:33]
	v_add_f64 v[34:35], v[10:11], -v[34:35]
	v_add_f64 v[36:37], v[4:5], -v[36:37]
	v_add_f64 v[38:39], v[6:7], -v[38:39]
	v_add_f64 v[40:41], v[0:1], -v[40:41]
	v_add_f64 v[42:43], v[2:3], -v[42:43]
	s_barrier
	ds_write_b128 v20, v[16:19]
	ds_write_b128 v20, v[24:27] offset:272
	v_accvgpr_read_b32 v16, a49
	v_fma_f64 v[8:9], v[8:9], 2.0, -v[32:33]
	v_fma_f64 v[10:11], v[10:11], 2.0, -v[34:35]
	;; [unrolled: 1-line block ×6, first 2 shown]
	ds_write_b128 v16, v[12:15]
	ds_write_b128 v16, v[28:31] offset:272
	ds_write_b128 v48, v[8:11]
	ds_write_b128 v48, v[32:35] offset:272
	;; [unrolled: 2-line block ×4, first 2 shown]
	s_and_saveexec_b64 s[2:3], s[0:1]
	s_cbranch_execz .LBB0_21
; %bb.20:
	v_accvgpr_read_b32 v8, a24
	v_accvgpr_read_b32 v10, a26
	v_accvgpr_read_b32 v11, a27
	v_accvgpr_read_b32 v9, a25
	v_mul_f64 v[0:1], v[10:11], v[136:137]
	v_fma_f64 v[0:1], v[8:9], v[138:139], -v[0:1]
	v_add_f64 v[2:3], v[134:135], -v[0:1]
	v_mul_f64 v[0:1], v[10:11], v[138:139]
	v_fmac_f64_e32 v[0:1], v[8:9], v[136:137]
	v_accvgpr_read_b32 v8, a1
	v_add_f64 v[0:1], v[132:133], -v[0:1]
	v_and_b32_e32 v8, 0xff, v8
	v_fma_f64 v[6:7], v[134:135], 2.0, -v[2:3]
	v_fma_f64 v[4:5], v[132:133], 2.0, -v[0:1]
	v_lshl_add_u32 v8, v8, 4, v187
	ds_write_b128 v8, v[4:7] offset:5440
	ds_write_b128 v8, v[0:3] offset:5712
.LBB0_21:
	s_or_b64 exec, exec, s[2:3]
	s_waitcnt lgkmcnt(0)
	s_barrier
	ds_read_b128 v[4:7], v143
	ds_read_b128 v[0:3], v143 offset:544
	ds_read_b128 v[8:11], v143 offset:1088
	;; [unrolled: 1-line block ×10, first 2 shown]
	s_waitcnt lgkmcnt(9)
	v_mul_f64 v[42:43], v[58:59], v[2:3]
	v_fmac_f64_e32 v[42:43], v[56:57], v[0:1]
	v_mul_f64 v[0:1], v[58:59], v[0:1]
	v_fma_f64 v[44:45], v[56:57], v[2:3], -v[0:1]
	s_waitcnt lgkmcnt(8)
	v_mul_f64 v[46:47], v[54:55], v[10:11]
	v_mul_f64 v[0:1], v[54:55], v[8:9]
	v_fmac_f64_e32 v[46:47], v[52:53], v[8:9]
	v_fma_f64 v[48:49], v[52:53], v[10:11], -v[0:1]
	v_accvgpr_read_b32 v8, a12
	v_accvgpr_read_b32 v10, a14
	;; [unrolled: 1-line block ×4, first 2 shown]
	s_waitcnt lgkmcnt(7)
	v_mul_f64 v[50:51], v[10:11], v[14:15]
	v_mul_f64 v[0:1], v[10:11], v[12:13]
	v_fmac_f64_e32 v[50:51], v[8:9], v[12:13]
	v_fma_f64 v[52:53], v[8:9], v[14:15], -v[0:1]
	v_accvgpr_read_b32 v8, a8
	v_accvgpr_read_b32 v10, a10
	;; [unrolled: 1-line block ×4, first 2 shown]
	s_waitcnt lgkmcnt(6)
	v_mul_f64 v[16:17], v[10:11], v[20:21]
	v_mul_f64 v[0:1], v[10:11], v[18:19]
	v_fmac_f64_e32 v[16:17], v[8:9], v[18:19]
	v_fma_f64 v[18:19], v[8:9], v[20:21], -v[0:1]
	s_waitcnt lgkmcnt(5)
	v_mul_f64 v[0:1], v[74:75], v[22:23]
	v_fma_f64 v[10:11], v[72:73], v[24:25], -v[0:1]
	s_waitcnt lgkmcnt(4)
	v_mul_f64 v[0:1], v[70:71], v[26:27]
	v_mul_f64 v[8:9], v[74:75], v[24:25]
	v_fma_f64 v[14:15], v[68:69], v[28:29], -v[0:1]
	s_waitcnt lgkmcnt(3)
	v_mul_f64 v[0:1], v[66:67], v[30:31]
	v_fmac_f64_e32 v[8:9], v[72:73], v[22:23]
	v_mul_f64 v[12:13], v[70:71], v[28:29]
	v_fma_f64 v[22:23], v[64:65], v[32:33], -v[0:1]
	s_waitcnt lgkmcnt(2)
	v_mul_f64 v[0:1], v[62:63], v[34:35]
	v_fmac_f64_e32 v[12:13], v[68:69], v[26:27]
	v_mul_f64 v[20:21], v[66:67], v[32:33]
	v_fma_f64 v[26:27], v[60:61], v[36:37], -v[0:1]
	s_waitcnt lgkmcnt(1)
	v_mul_f64 v[0:1], v[82:83], v[38:39]
	v_add_f64 v[2:3], v[6:7], v[44:45]
	v_fmac_f64_e32 v[20:21], v[64:65], v[30:31]
	v_mul_f64 v[24:25], v[62:63], v[36:37]
	v_fma_f64 v[30:31], v[80:81], v[40:41], -v[0:1]
	s_waitcnt lgkmcnt(0)
	v_mul_f64 v[0:1], v[78:79], v[84:85]
	v_add_f64 v[2:3], v[2:3], v[48:49]
	v_fmac_f64_e32 v[24:25], v[60:61], v[34:35]
	v_fma_f64 v[34:35], v[76:77], v[86:87], -v[0:1]
	v_add_f64 v[0:1], v[4:5], v[42:43]
	v_add_f64 v[2:3], v[2:3], v[52:53]
	;; [unrolled: 1-line block ×12, first 2 shown]
	v_mul_f64 v[28:29], v[82:83], v[40:41]
	v_mul_f64 v[32:33], v[78:79], v[86:87]
	v_add_f64 v[0:1], v[0:1], v[20:21]
	v_add_f64 v[2:3], v[2:3], v[30:31]
	s_mov_b32 s18, 0xf8bb580b
	s_mov_b32 s2, 0x8eee2c13
	s_mov_b32 s0, 0x43842ef
	s_mov_b32 s26, 0xbb3a28a1
	s_mov_b32 s34, 0xfd768dbf
	v_fmac_f64_e32 v[28:29], v[80:81], v[38:39]
	v_fmac_f64_e32 v[32:33], v[76:77], v[84:85]
	v_add_f64 v[0:1], v[0:1], v[24:25]
	v_add_f64 v[2:3], v[2:3], v[34:35]
	;; [unrolled: 1-line block ×3, first 2 shown]
	v_add_f64 v[34:35], v[44:45], -v[34:35]
	s_mov_b32 s19, 0xbfe14ced
	s_mov_b32 s20, 0x8764f0ba
	;; [unrolled: 1-line block ×10, first 2 shown]
	v_add_f64 v[0:1], v[0:1], v[28:29]
	v_add_f64 v[36:37], v[42:43], v[32:33]
	v_mul_f64 v[40:41], v[34:35], s[18:19]
	s_mov_b32 s21, 0x3feaeb8c
	v_mul_f64 v[56:57], v[34:35], s[2:3]
	s_mov_b32 s11, 0x3fda9628
	;; [unrolled: 2-line block ×5, first 2 shown]
	v_add_f64 v[0:1], v[0:1], v[32:33]
	v_add_f64 v[32:33], v[42:43], -v[32:33]
	v_fma_f64 v[42:43], s[20:21], v[36:37], v[40:41]
	v_fma_f64 v[40:41], v[36:37], s[20:21], -v[40:41]
	v_fma_f64 v[58:59], s[10:11], v[36:37], v[56:57]
	v_fma_f64 v[56:57], v[36:37], s[10:11], -v[56:57]
	;; [unrolled: 2-line block ×5, first 2 shown]
	v_add_f64 v[42:43], v[4:5], v[42:43]
	v_mul_f64 v[44:45], v[38:39], s[20:21]
	s_mov_b32 s23, 0x3fe14ced
	s_mov_b32 s22, s18
	v_add_f64 v[40:41], v[4:5], v[40:41]
	v_add_f64 v[58:59], v[4:5], v[58:59]
	v_mul_f64 v[60:61], v[38:39], s[10:11]
	s_mov_b32 s15, 0x3fed1bb4
	s_mov_b32 s14, s2
	v_add_f64 v[56:57], v[4:5], v[56:57]
	;; [unrolled: 5-line block ×5, first 2 shown]
	v_add_f64 v[34:35], v[48:49], v[30:31]
	v_add_f64 v[30:31], v[48:49], -v[30:31]
	v_fma_f64 v[54:55], s[22:23], v[32:33], v[44:45]
	v_fmac_f64_e32 v[44:45], s[18:19], v[32:33]
	v_fma_f64 v[62:63], s[14:15], v[32:33], v[60:61]
	v_fmac_f64_e32 v[60:61], s[2:3], v[32:33]
	;; [unrolled: 2-line block ×5, first 2 shown]
	v_add_f64 v[32:33], v[46:47], v[28:29]
	v_mul_f64 v[36:37], v[30:31], s[2:3]
	v_add_f64 v[54:55], v[6:7], v[54:55]
	v_add_f64 v[44:45], v[6:7], v[44:45]
	;; [unrolled: 1-line block ×10, first 2 shown]
	v_fma_f64 v[38:39], s[10:11], v[32:33], v[36:37]
	v_add_f64 v[28:29], v[46:47], -v[28:29]
	v_add_f64 v[38:39], v[38:39], v[42:43]
	v_mul_f64 v[42:43], v[34:35], s[10:11]
	v_fma_f64 v[46:47], s[14:15], v[28:29], v[42:43]
	v_fma_f64 v[36:37], v[32:33], s[10:11], -v[36:37]
	v_fmac_f64_e32 v[42:43], s[2:3], v[28:29]
	v_add_f64 v[36:37], v[36:37], v[40:41]
	v_add_f64 v[40:41], v[42:43], v[44:45]
	v_mul_f64 v[42:43], v[30:31], s[26:27]
	v_fma_f64 v[44:45], s[28:29], v[32:33], v[42:43]
	v_fma_f64 v[42:43], v[32:33], s[28:29], -v[42:43]
	v_add_f64 v[42:43], v[42:43], v[56:57]
	v_mul_f64 v[56:57], v[30:31], s[38:39]
	v_add_f64 v[44:45], v[44:45], v[58:59]
	v_mul_f64 v[48:49], v[34:35], s[28:29]
	v_fma_f64 v[58:59], s[36:37], v[32:33], v[56:57]
	v_fma_f64 v[56:57], v[32:33], s[36:37], -v[56:57]
	v_add_f64 v[46:47], v[46:47], v[54:55]
	v_fma_f64 v[54:55], s[30:31], v[28:29], v[48:49]
	v_fmac_f64_e32 v[48:49], s[26:27], v[28:29]
	v_add_f64 v[56:57], v[56:57], v[64:65]
	v_mul_f64 v[64:65], v[30:31], s[24:25]
	v_add_f64 v[48:49], v[48:49], v[60:61]
	v_add_f64 v[58:59], v[58:59], v[66:67]
	v_mul_f64 v[60:61], v[34:35], s[36:37]
	v_fma_f64 v[66:67], s[16:17], v[32:33], v[64:65]
	v_fma_f64 v[64:65], v[32:33], s[16:17], -v[64:65]
	v_mul_f64 v[30:31], v[30:31], s[22:23]
	v_add_f64 v[54:55], v[54:55], v[62:63]
	v_fma_f64 v[62:63], s[34:35], v[28:29], v[60:61]
	v_fmac_f64_e32 v[60:61], s[38:39], v[28:29]
	v_add_f64 v[64:65], v[64:65], v[72:73]
	v_fma_f64 v[72:73], s[20:21], v[32:33], v[30:31]
	v_fma_f64 v[30:31], v[32:33], s[20:21], -v[30:31]
	v_add_f64 v[60:61], v[60:61], v[68:69]
	v_mul_f64 v[68:69], v[34:35], s[16:17]
	v_mul_f64 v[34:35], v[34:35], s[20:21]
	v_add_f64 v[4:5], v[30:31], v[4:5]
	v_add_f64 v[30:31], v[52:53], v[26:27]
	v_add_f64 v[26:27], v[52:53], -v[26:27]
	v_add_f64 v[62:63], v[62:63], v[70:71]
	v_add_f64 v[66:67], v[66:67], v[74:75]
	v_fma_f64 v[70:71], s[0:1], v[28:29], v[68:69]
	v_fmac_f64_e32 v[68:69], s[24:25], v[28:29]
	v_fma_f64 v[74:75], s[18:19], v[28:29], v[34:35]
	v_fmac_f64_e32 v[34:35], s[22:23], v[28:29]
	v_add_f64 v[28:29], v[50:51], v[24:25]
	v_mul_f64 v[32:33], v[26:27], s[0:1]
	v_add_f64 v[6:7], v[34:35], v[6:7]
	v_fma_f64 v[34:35], s[16:17], v[28:29], v[32:33]
	v_add_f64 v[24:25], v[50:51], -v[24:25]
	v_add_f64 v[34:35], v[34:35], v[38:39]
	v_mul_f64 v[38:39], v[30:31], s[16:17]
	v_fma_f64 v[50:51], s[24:25], v[24:25], v[38:39]
	v_fma_f64 v[32:33], v[28:29], s[16:17], -v[32:33]
	v_fmac_f64_e32 v[38:39], s[0:1], v[24:25]
	v_add_f64 v[32:33], v[32:33], v[36:37]
	v_add_f64 v[36:37], v[38:39], v[40:41]
	v_mul_f64 v[38:39], v[26:27], s[38:39]
	v_fma_f64 v[40:41], s[36:37], v[28:29], v[38:39]
	v_add_f64 v[40:41], v[40:41], v[44:45]
	v_mul_f64 v[44:45], v[30:31], s[36:37]
	v_add_f64 v[46:47], v[50:51], v[46:47]
	v_fma_f64 v[50:51], s[34:35], v[24:25], v[44:45]
	v_fma_f64 v[38:39], v[28:29], s[36:37], -v[38:39]
	v_fmac_f64_e32 v[44:45], s[38:39], v[24:25]
	v_add_f64 v[38:39], v[38:39], v[42:43]
	v_add_f64 v[42:43], v[44:45], v[48:49]
	v_mul_f64 v[44:45], v[26:27], s[14:15]
	v_fma_f64 v[48:49], s[10:11], v[28:29], v[44:45]
	v_fma_f64 v[44:45], v[28:29], s[10:11], -v[44:45]
	v_add_f64 v[44:45], v[44:45], v[56:57]
	v_mul_f64 v[56:57], v[26:27], s[18:19]
	v_add_f64 v[48:49], v[48:49], v[58:59]
	v_mul_f64 v[52:53], v[30:31], s[10:11]
	v_fma_f64 v[58:59], s[20:21], v[28:29], v[56:57]
	v_fma_f64 v[56:57], v[28:29], s[20:21], -v[56:57]
	v_mul_f64 v[26:27], v[26:27], s[26:27]
	v_add_f64 v[50:51], v[50:51], v[54:55]
	v_fma_f64 v[54:55], s[2:3], v[24:25], v[52:53]
	v_fmac_f64_e32 v[52:53], s[14:15], v[24:25]
	v_add_f64 v[56:57], v[56:57], v[64:65]
	v_fma_f64 v[64:65], s[28:29], v[28:29], v[26:27]
	v_fma_f64 v[26:27], v[28:29], s[28:29], -v[26:27]
	v_add_f64 v[52:53], v[52:53], v[60:61]
	v_mul_f64 v[60:61], v[30:31], s[20:21]
	v_mul_f64 v[30:31], v[30:31], s[28:29]
	v_add_f64 v[4:5], v[26:27], v[4:5]
	v_add_f64 v[26:27], v[18:19], v[22:23]
	v_add_f64 v[18:19], v[18:19], -v[22:23]
	v_add_f64 v[54:55], v[54:55], v[62:63]
	v_add_f64 v[58:59], v[58:59], v[66:67]
	v_fma_f64 v[62:63], s[22:23], v[24:25], v[60:61]
	v_fmac_f64_e32 v[60:61], s[18:19], v[24:25]
	v_fma_f64 v[66:67], s[30:31], v[24:25], v[30:31]
	v_fmac_f64_e32 v[30:31], s[26:27], v[24:25]
	v_add_f64 v[24:25], v[16:17], v[20:21]
	v_add_f64 v[16:17], v[16:17], -v[20:21]
	v_mul_f64 v[20:21], v[18:19], s[26:27]
	v_fma_f64 v[22:23], s[28:29], v[24:25], v[20:21]
	v_mul_f64 v[28:29], v[26:27], s[28:29]
	v_fma_f64 v[20:21], v[24:25], s[28:29], -v[20:21]
	v_add_f64 v[6:7], v[30:31], v[6:7]
	v_fma_f64 v[30:31], s[30:31], v[16:17], v[28:29]
	v_add_f64 v[20:21], v[20:21], v[32:33]
	v_fmac_f64_e32 v[28:29], s[26:27], v[16:17]
	v_mul_f64 v[32:33], v[18:19], s[24:25]
	v_add_f64 v[22:23], v[22:23], v[34:35]
	v_add_f64 v[28:29], v[28:29], v[36:37]
	v_fma_f64 v[34:35], s[16:17], v[24:25], v[32:33]
	v_mul_f64 v[36:37], v[26:27], s[16:17]
	v_fma_f64 v[32:33], v[24:25], s[16:17], -v[32:33]
	v_add_f64 v[34:35], v[34:35], v[40:41]
	v_fma_f64 v[40:41], s[0:1], v[16:17], v[36:37]
	v_add_f64 v[32:33], v[32:33], v[38:39]
	v_fmac_f64_e32 v[36:37], s[24:25], v[16:17]
	v_mul_f64 v[38:39], v[18:19], s[18:19]
	v_add_f64 v[30:31], v[30:31], v[46:47]
	v_add_f64 v[36:37], v[36:37], v[42:43]
	v_fma_f64 v[42:43], s[20:21], v[24:25], v[38:39]
	v_mul_f64 v[46:47], v[26:27], s[20:21]
	v_add_f64 v[42:43], v[42:43], v[48:49]
	v_fma_f64 v[48:49], s[22:23], v[16:17], v[46:47]
	v_fma_f64 v[38:39], v[24:25], s[20:21], -v[38:39]
	v_fmac_f64_e32 v[46:47], s[18:19], v[16:17]
	v_add_f64 v[38:39], v[38:39], v[44:45]
	v_add_f64 v[44:45], v[46:47], v[52:53]
	v_mul_f64 v[46:47], v[18:19], s[34:35]
	v_add_f64 v[70:71], v[70:71], v[78:79]
	v_add_f64 v[72:73], v[72:73], v[80:81]
	;; [unrolled: 1-line block ×4, first 2 shown]
	v_fma_f64 v[50:51], s[36:37], v[24:25], v[46:47]
	v_mul_f64 v[52:53], v[26:27], s[36:37]
	v_fma_f64 v[46:47], v[24:25], s[36:37], -v[46:47]
	v_mul_f64 v[18:19], v[18:19], s[14:15]
	v_mul_f64 v[26:27], v[26:27], s[10:11]
	v_add_f64 v[68:69], v[68:69], v[76:77]
	v_add_f64 v[62:63], v[62:63], v[70:71]
	;; [unrolled: 1-line block ×6, first 2 shown]
	v_fma_f64 v[56:57], s[10:11], v[24:25], v[18:19]
	v_fma_f64 v[58:59], s[2:3], v[16:17], v[26:27]
	v_add_f64 v[70:71], v[10:11], -v[14:15]
	v_add_f64 v[60:61], v[60:61], v[68:69]
	v_add_f64 v[48:49], v[48:49], v[54:55]
	v_fma_f64 v[54:55], s[38:39], v[16:17], v[52:53]
	v_fmac_f64_e32 v[52:53], s[34:35], v[16:17]
	v_add_f64 v[56:57], v[56:57], v[64:65]
	v_add_f64 v[58:59], v[58:59], v[66:67]
	v_fma_f64 v[18:19], v[24:25], s[10:11], -v[18:19]
	v_add_f64 v[64:65], v[8:9], v[12:13]
	v_add_f64 v[66:67], v[10:11], v[14:15]
	v_add_f64 v[68:69], v[8:9], -v[12:13]
	v_mul_f64 v[8:9], v[70:71], s[34:35]
	v_add_f64 v[52:53], v[52:53], v[60:61]
	v_add_f64 v[60:61], v[18:19], v[4:5]
	v_fmac_f64_e32 v[26:27], s[14:15], v[16:17]
	v_fma_f64 v[4:5], s[36:37], v[64:65], v[8:9]
	v_fma_f64 v[8:9], v[64:65], s[36:37], -v[8:9]
	v_mul_f64 v[16:17], v[70:71], s[22:23]
	v_mul_f64 v[18:19], v[66:67], s[20:21]
	;; [unrolled: 1-line block ×3, first 2 shown]
	v_add_f64 v[54:55], v[54:55], v[62:63]
	v_add_f64 v[62:63], v[26:27], v[6:7]
	v_mul_f64 v[10:11], v[66:67], s[36:37]
	v_add_f64 v[8:9], v[8:9], v[20:21]
	v_fma_f64 v[12:13], s[20:21], v[64:65], v[16:17]
	v_fma_f64 v[14:15], s[18:19], v[68:69], v[18:19]
	v_fma_f64 v[16:17], v[64:65], s[20:21], -v[16:17]
	v_fma_f64 v[20:21], s[28:29], v[64:65], v[24:25]
	v_mul_f64 v[26:27], v[66:67], s[28:29]
	v_add_f64 v[4:5], v[4:5], v[22:23]
	v_fma_f64 v[6:7], s[38:39], v[68:69], v[10:11]
	v_fmac_f64_e32 v[10:11], s[34:35], v[68:69]
	v_add_f64 v[12:13], v[12:13], v[34:35]
	v_add_f64 v[14:15], v[14:15], v[40:41]
	;; [unrolled: 1-line block ×3, first 2 shown]
	v_fmac_f64_e32 v[18:19], s[22:23], v[68:69]
	v_add_f64 v[20:21], v[20:21], v[42:43]
	v_fma_f64 v[22:23], s[30:31], v[68:69], v[26:27]
	v_fma_f64 v[24:25], v[64:65], s[28:29], -v[24:25]
	v_mul_f64 v[32:33], v[70:71], s[14:15]
	v_mul_f64 v[34:35], v[66:67], s[10:11]
	v_mul_f64 v[40:41], v[70:71], s[0:1]
	v_mul_f64 v[42:43], v[66:67], s[16:17]
	v_add_f64 v[6:7], v[6:7], v[30:31]
	v_add_f64 v[10:11], v[10:11], v[28:29]
	;; [unrolled: 1-line block ×5, first 2 shown]
	v_fmac_f64_e32 v[26:27], s[26:27], v[68:69]
	v_fma_f64 v[28:29], s[10:11], v[64:65], v[32:33]
	v_fma_f64 v[30:31], s[2:3], v[68:69], v[34:35]
	v_fma_f64 v[32:33], v[64:65], s[10:11], -v[32:33]
	v_fmac_f64_e32 v[34:35], s[14:15], v[68:69]
	v_fma_f64 v[36:37], s[16:17], v[64:65], v[40:41]
	v_fma_f64 v[38:39], s[24:25], v[68:69], v[42:43]
	v_fma_f64 v[40:41], v[64:65], s[16:17], -v[40:41]
	v_fmac_f64_e32 v[42:43], s[0:1], v[68:69]
	v_add_f64 v[26:27], v[26:27], v[44:45]
	v_add_f64 v[28:29], v[28:29], v[50:51]
	;; [unrolled: 1-line block ×9, first 2 shown]
	ds_write_b128 v142, v[0:3]
	ds_write_b128 v142, v[4:7] offset:544
	ds_write_b128 v142, v[12:15] offset:1088
	;; [unrolled: 1-line block ×10, first 2 shown]
	s_and_b64 s[0:1], exec, vcc
	v_accvgpr_read_b32 v22, a2
	s_waitcnt lgkmcnt(0)
	s_barrier
	s_mov_b64 exec, s[0:1]
	s_cbranch_execz .LBB0_23
; %bb.22:
	global_load_dwordx4 v[2:5], v186, s[8:9]
	v_mad_u64_u32 v[14:15], s[0:1], s6, v22, 0
	v_mad_u64_u32 v[16:17], s[2:3], s4, v146, 0
	ds_read_b128 v[6:9], v142
	ds_read_b128 v[10:13], v142 offset:352
	v_mov_b32_e32 v18, v15
	v_mov_b32_e32 v20, v17
	v_mad_u64_u32 v[18:19], s[2:3], s7, v22, v[18:19]
	v_mov_b32_e32 v0, s12
	v_mov_b32_e32 v1, s13
	v_mad_u64_u32 v[20:21], s[2:3], s5, v146, v[20:21]
	v_mov_b32_e32 v15, v18
	v_mov_b32_e32 v17, v20
	v_lshl_add_u64 v[0:1], v[14:15], 4, v[0:1]
	s_mov_b32 s0, 0xb8d015e7
	v_lshl_add_u64 v[14:15], v[16:17], 4, v[0:1]
	s_mov_b32 s1, 0x3f65e75b
	s_mul_i32 s2, s5, 0x160
	v_mov_b32_e32 v187, 0
	s_movk_i32 s3, 0x1000
	s_waitcnt vmcnt(0) lgkmcnt(1)
	v_mul_f64 v[16:17], v[8:9], v[4:5]
	v_mul_f64 v[4:5], v[6:7], v[4:5]
	v_fmac_f64_e32 v[16:17], v[6:7], v[2:3]
	v_fma_f64 v[4:5], v[2:3], v[8:9], -v[4:5]
	v_mul_f64 v[2:3], v[16:17], s[0:1]
	v_mul_f64 v[4:5], v[4:5], s[0:1]
	global_store_dwordx4 v[14:15], v[2:5], off
	global_load_dwordx4 v[4:7], v186, s[8:9] offset:352
	s_waitcnt vmcnt(0) lgkmcnt(0)
	v_mul_f64 v[8:9], v[12:13], v[6:7]
	v_mov_b32_e32 v2, 0x160
	v_mul_f64 v[6:7], v[10:11], v[6:7]
	v_mad_u64_u32 v[16:17], s[6:7], s4, v2, v[14:15]
	v_fmac_f64_e32 v[8:9], v[10:11], v[4:5]
	v_fma_f64 v[6:7], v[4:5], v[12:13], -v[6:7]
	v_add_u32_e32 v17, s2, v17
	v_mul_f64 v[4:5], v[8:9], s[0:1]
	v_mul_f64 v[6:7], v[6:7], s[0:1]
	global_store_dwordx4 v[16:17], v[4:7], off
	global_load_dwordx4 v[4:7], v186, s[8:9] offset:704
	ds_read_b128 v[8:11], v142 offset:704
	ds_read_b128 v[12:15], v142 offset:1056
	v_mad_u64_u32 v[16:17], s[6:7], s4, v2, v[16:17]
	v_add_u32_e32 v17, s2, v17
	s_waitcnt vmcnt(0) lgkmcnt(1)
	v_mul_f64 v[18:19], v[10:11], v[6:7]
	v_mul_f64 v[6:7], v[8:9], v[6:7]
	v_fmac_f64_e32 v[18:19], v[8:9], v[4:5]
	v_fma_f64 v[6:7], v[4:5], v[10:11], -v[6:7]
	v_mul_f64 v[4:5], v[18:19], s[0:1]
	v_mul_f64 v[6:7], v[6:7], s[0:1]
	global_store_dwordx4 v[16:17], v[4:7], off
	global_load_dwordx4 v[4:7], v186, s[8:9] offset:1056
	v_mad_u64_u32 v[16:17], s[6:7], s4, v2, v[16:17]
	v_add_u32_e32 v17, s2, v17
	s_waitcnt vmcnt(0) lgkmcnt(0)
	v_mul_f64 v[8:9], v[14:15], v[6:7]
	v_mul_f64 v[6:7], v[12:13], v[6:7]
	v_fmac_f64_e32 v[8:9], v[12:13], v[4:5]
	v_fma_f64 v[6:7], v[4:5], v[14:15], -v[6:7]
	v_mul_f64 v[4:5], v[8:9], s[0:1]
	v_mul_f64 v[6:7], v[6:7], s[0:1]
	global_store_dwordx4 v[16:17], v[4:7], off
	global_load_dwordx4 v[4:7], v186, s[8:9] offset:1408
	ds_read_b128 v[8:11], v142 offset:1408
	ds_read_b128 v[12:15], v142 offset:1760
	v_mad_u64_u32 v[16:17], s[6:7], s4, v2, v[16:17]
	v_add_u32_e32 v17, s2, v17
	s_waitcnt vmcnt(0) lgkmcnt(1)
	v_mul_f64 v[18:19], v[10:11], v[6:7]
	v_mul_f64 v[6:7], v[8:9], v[6:7]
	v_fmac_f64_e32 v[18:19], v[8:9], v[4:5]
	v_fma_f64 v[6:7], v[4:5], v[10:11], -v[6:7]
	v_mul_f64 v[4:5], v[18:19], s[0:1]
	v_mul_f64 v[6:7], v[6:7], s[0:1]
	global_store_dwordx4 v[16:17], v[4:7], off
	global_load_dwordx4 v[4:7], v186, s[8:9] offset:1760
	v_mad_u64_u32 v[16:17], s[6:7], s4, v2, v[16:17]
	v_add_u32_e32 v17, s2, v17
	s_waitcnt vmcnt(0) lgkmcnt(0)
	v_mul_f64 v[8:9], v[14:15], v[6:7]
	v_mul_f64 v[6:7], v[12:13], v[6:7]
	v_fmac_f64_e32 v[8:9], v[12:13], v[4:5]
	v_fma_f64 v[6:7], v[4:5], v[14:15], -v[6:7]
	v_mul_f64 v[4:5], v[8:9], s[0:1]
	v_mul_f64 v[6:7], v[6:7], s[0:1]
	global_store_dwordx4 v[16:17], v[4:7], off
	global_load_dwordx4 v[4:7], v186, s[8:9] offset:2112
	ds_read_b128 v[8:11], v142 offset:2112
	ds_read_b128 v[12:15], v142 offset:2464
	v_mad_u64_u32 v[16:17], s[6:7], s4, v2, v[16:17]
	v_add_u32_e32 v17, s2, v17
	s_waitcnt vmcnt(0) lgkmcnt(1)
	v_mul_f64 v[18:19], v[10:11], v[6:7]
	v_mul_f64 v[6:7], v[8:9], v[6:7]
	v_fmac_f64_e32 v[18:19], v[8:9], v[4:5]
	v_fma_f64 v[6:7], v[4:5], v[10:11], -v[6:7]
	v_mul_f64 v[4:5], v[18:19], s[0:1]
	v_mul_f64 v[6:7], v[6:7], s[0:1]
	global_store_dwordx4 v[16:17], v[4:7], off
	global_load_dwordx4 v[4:7], v186, s[8:9] offset:2464
	v_mad_u64_u32 v[16:17], s[6:7], s4, v2, v[16:17]
	v_add_u32_e32 v17, s2, v17
	s_waitcnt vmcnt(0) lgkmcnt(0)
	v_mul_f64 v[8:9], v[14:15], v[6:7]
	v_mul_f64 v[6:7], v[12:13], v[6:7]
	v_fmac_f64_e32 v[8:9], v[12:13], v[4:5]
	v_fma_f64 v[6:7], v[4:5], v[14:15], -v[6:7]
	v_mul_f64 v[4:5], v[8:9], s[0:1]
	v_mul_f64 v[6:7], v[6:7], s[0:1]
	global_store_dwordx4 v[16:17], v[4:7], off
	global_load_dwordx4 v[4:7], v186, s[8:9] offset:2816
	ds_read_b128 v[8:11], v142 offset:2816
	ds_read_b128 v[12:15], v142 offset:3168
	v_mad_u64_u32 v[16:17], s[6:7], s4, v2, v[16:17]
	v_add_u32_e32 v17, s2, v17
	s_waitcnt vmcnt(0) lgkmcnt(1)
	v_mul_f64 v[18:19], v[10:11], v[6:7]
	v_mul_f64 v[6:7], v[8:9], v[6:7]
	v_fmac_f64_e32 v[18:19], v[8:9], v[4:5]
	v_fma_f64 v[6:7], v[4:5], v[10:11], -v[6:7]
	v_mul_f64 v[4:5], v[18:19], s[0:1]
	v_mul_f64 v[6:7], v[6:7], s[0:1]
	global_store_dwordx4 v[16:17], v[4:7], off
	global_load_dwordx4 v[4:7], v186, s[8:9] offset:3168
	v_mad_u64_u32 v[16:17], s[6:7], s4, v2, v[16:17]
	v_add_u32_e32 v17, s2, v17
	s_waitcnt vmcnt(0) lgkmcnt(0)
	v_mul_f64 v[8:9], v[14:15], v[6:7]
	v_mul_f64 v[6:7], v[12:13], v[6:7]
	v_fmac_f64_e32 v[8:9], v[12:13], v[4:5]
	v_fma_f64 v[6:7], v[4:5], v[14:15], -v[6:7]
	v_mul_f64 v[4:5], v[8:9], s[0:1]
	v_mul_f64 v[6:7], v[6:7], s[0:1]
	global_store_dwordx4 v[16:17], v[4:7], off
	global_load_dwordx4 v[4:7], v186, s[8:9] offset:3520
	ds_read_b128 v[8:11], v142 offset:3520
	ds_read_b128 v[12:15], v142 offset:3872
	v_mad_u64_u32 v[16:17], s[6:7], s4, v2, v[16:17]
	v_add_u32_e32 v17, s2, v17
	s_waitcnt vmcnt(0) lgkmcnt(1)
	v_mul_f64 v[18:19], v[10:11], v[6:7]
	v_mul_f64 v[6:7], v[8:9], v[6:7]
	v_fmac_f64_e32 v[18:19], v[8:9], v[4:5]
	v_fma_f64 v[6:7], v[4:5], v[10:11], -v[6:7]
	v_mul_f64 v[4:5], v[18:19], s[0:1]
	v_mul_f64 v[6:7], v[6:7], s[0:1]
	global_store_dwordx4 v[16:17], v[4:7], off
	global_load_dwordx4 v[4:7], v186, s[8:9] offset:3872
	v_lshl_add_u64 v[8:9], s[8:9], 0, v[186:187]
	v_add_co_u32_e32 v18, vcc, s3, v8
	v_mad_u64_u32 v[16:17], s[6:7], s4, v2, v[16:17]
	s_nop 0
	v_addc_co_u32_e32 v19, vcc, 0, v9, vcc
	v_add_u32_e32 v17, s2, v17
	s_waitcnt vmcnt(0) lgkmcnt(0)
	v_mul_f64 v[8:9], v[14:15], v[6:7]
	v_mul_f64 v[6:7], v[12:13], v[6:7]
	v_fmac_f64_e32 v[8:9], v[12:13], v[4:5]
	v_fma_f64 v[6:7], v[4:5], v[14:15], -v[6:7]
	v_mul_f64 v[4:5], v[8:9], s[0:1]
	v_mul_f64 v[6:7], v[6:7], s[0:1]
	global_store_dwordx4 v[16:17], v[4:7], off
	global_load_dwordx4 v[4:7], v[18:19], off offset:128
	ds_read_b128 v[8:11], v142 offset:4224
	ds_read_b128 v[12:15], v142 offset:4576
	v_mad_u64_u32 v[16:17], s[6:7], s4, v2, v[16:17]
	v_add_u32_e32 v17, s2, v17
	s_waitcnt vmcnt(0) lgkmcnt(1)
	v_mul_f64 v[20:21], v[10:11], v[6:7]
	v_mul_f64 v[6:7], v[8:9], v[6:7]
	v_fmac_f64_e32 v[20:21], v[8:9], v[4:5]
	v_fma_f64 v[6:7], v[4:5], v[10:11], -v[6:7]
	v_mul_f64 v[4:5], v[20:21], s[0:1]
	v_mul_f64 v[6:7], v[6:7], s[0:1]
	global_store_dwordx4 v[16:17], v[4:7], off
	global_load_dwordx4 v[4:7], v[18:19], off offset:480
	v_mad_u64_u32 v[16:17], s[6:7], s4, v2, v[16:17]
	v_add_u32_e32 v17, s2, v17
	s_waitcnt vmcnt(0) lgkmcnt(0)
	v_mul_f64 v[8:9], v[14:15], v[6:7]
	v_mul_f64 v[6:7], v[12:13], v[6:7]
	v_fmac_f64_e32 v[8:9], v[12:13], v[4:5]
	v_fma_f64 v[6:7], v[4:5], v[14:15], -v[6:7]
	v_mul_f64 v[4:5], v[8:9], s[0:1]
	v_mul_f64 v[6:7], v[6:7], s[0:1]
	global_store_dwordx4 v[16:17], v[4:7], off
	global_load_dwordx4 v[4:7], v[18:19], off offset:832
	ds_read_b128 v[8:11], v142 offset:4928
	ds_read_b128 v[12:15], v142 offset:5280
	v_mad_u64_u32 v[16:17], s[6:7], s4, v2, v[16:17]
	v_add_u32_e32 v17, s2, v17
	s_waitcnt vmcnt(0) lgkmcnt(1)
	v_mul_f64 v[20:21], v[10:11], v[6:7]
	v_mul_f64 v[6:7], v[8:9], v[6:7]
	v_fmac_f64_e32 v[20:21], v[8:9], v[4:5]
	v_fma_f64 v[6:7], v[4:5], v[10:11], -v[6:7]
	v_mul_f64 v[4:5], v[20:21], s[0:1]
	v_mul_f64 v[6:7], v[6:7], s[0:1]
	global_store_dwordx4 v[16:17], v[4:7], off
	global_load_dwordx4 v[4:7], v[18:19], off offset:1184
	v_mad_u64_u32 v[8:9], s[6:7], s4, v2, v[16:17]
	v_or_b32_e32 v18, 0x160, v146
	v_add_u32_e32 v9, s2, v9
	v_lshlrev_b32_e32 v10, 4, v18
	s_waitcnt vmcnt(0) lgkmcnt(0)
	v_mul_f64 v[2:3], v[14:15], v[6:7]
	v_mul_f64 v[6:7], v[12:13], v[6:7]
	v_fmac_f64_e32 v[2:3], v[12:13], v[4:5]
	v_fma_f64 v[4:5], v[4:5], v[14:15], -v[6:7]
	v_mul_f64 v[2:3], v[2:3], s[0:1]
	v_mul_f64 v[4:5], v[4:5], s[0:1]
	global_store_dwordx4 v[8:9], v[2:5], off
	global_load_dwordx4 v[2:5], v10, s[8:9]
	ds_read_b128 v[6:9], v142 offset:5632
	v_mad_u64_u32 v[10:11], s[2:3], s4, v18, 0
	v_mov_b32_e32 v12, v11
	v_mad_u64_u32 v[12:13], s[2:3], s5, v18, v[12:13]
	v_mov_b32_e32 v11, v12
	v_lshl_add_u64 v[0:1], v[10:11], 4, v[0:1]
	s_waitcnt vmcnt(0) lgkmcnt(0)
	v_mul_f64 v[12:13], v[8:9], v[4:5]
	v_mul_f64 v[4:5], v[6:7], v[4:5]
	v_fmac_f64_e32 v[12:13], v[6:7], v[2:3]
	v_fma_f64 v[4:5], v[2:3], v[8:9], -v[4:5]
	v_mul_f64 v[2:3], v[12:13], s[0:1]
	v_mul_f64 v[4:5], v[4:5], s[0:1]
	global_store_dwordx4 v[0:1], v[2:5], off
.LBB0_23:
	s_endpgm
	.section	.rodata,"a",@progbits
	.p2align	6, 0x0
	.amdhsa_kernel bluestein_single_fwd_len374_dim1_dp_op_CI_CI
		.amdhsa_group_segment_fixed_size 41888
		.amdhsa_private_segment_fixed_size 0
		.amdhsa_kernarg_size 104
		.amdhsa_user_sgpr_count 2
		.amdhsa_user_sgpr_dispatch_ptr 0
		.amdhsa_user_sgpr_queue_ptr 0
		.amdhsa_user_sgpr_kernarg_segment_ptr 1
		.amdhsa_user_sgpr_dispatch_id 0
		.amdhsa_user_sgpr_kernarg_preload_length 0
		.amdhsa_user_sgpr_kernarg_preload_offset 0
		.amdhsa_user_sgpr_private_segment_size 0
		.amdhsa_uses_dynamic_stack 0
		.amdhsa_enable_private_segment 0
		.amdhsa_system_sgpr_workgroup_id_x 1
		.amdhsa_system_sgpr_workgroup_id_y 0
		.amdhsa_system_sgpr_workgroup_id_z 0
		.amdhsa_system_sgpr_workgroup_info 0
		.amdhsa_system_vgpr_workitem_id 0
		.amdhsa_next_free_vgpr 414
		.amdhsa_next_free_sgpr 60
		.amdhsa_accum_offset 256
		.amdhsa_reserve_vcc 1
		.amdhsa_float_round_mode_32 0
		.amdhsa_float_round_mode_16_64 0
		.amdhsa_float_denorm_mode_32 3
		.amdhsa_float_denorm_mode_16_64 3
		.amdhsa_dx10_clamp 1
		.amdhsa_ieee_mode 1
		.amdhsa_fp16_overflow 0
		.amdhsa_tg_split 0
		.amdhsa_exception_fp_ieee_invalid_op 0
		.amdhsa_exception_fp_denorm_src 0
		.amdhsa_exception_fp_ieee_div_zero 0
		.amdhsa_exception_fp_ieee_overflow 0
		.amdhsa_exception_fp_ieee_underflow 0
		.amdhsa_exception_fp_ieee_inexact 0
		.amdhsa_exception_int_div_zero 0
	.end_amdhsa_kernel
	.text
.Lfunc_end0:
	.size	bluestein_single_fwd_len374_dim1_dp_op_CI_CI, .Lfunc_end0-bluestein_single_fwd_len374_dim1_dp_op_CI_CI
                                        ; -- End function
	.section	.AMDGPU.csdata,"",@progbits
; Kernel info:
; codeLenInByte = 28924
; NumSgprs: 66
; NumVgprs: 256
; NumAgprs: 158
; TotalNumVgprs: 414
; ScratchSize: 0
; MemoryBound: 0
; FloatMode: 240
; IeeeMode: 1
; LDSByteSize: 41888 bytes/workgroup (compile time only)
; SGPRBlocks: 8
; VGPRBlocks: 51
; NumSGPRsForWavesPerEU: 66
; NumVGPRsForWavesPerEU: 414
; AccumOffset: 256
; Occupancy: 1
; WaveLimiterHint : 1
; COMPUTE_PGM_RSRC2:SCRATCH_EN: 0
; COMPUTE_PGM_RSRC2:USER_SGPR: 2
; COMPUTE_PGM_RSRC2:TRAP_HANDLER: 0
; COMPUTE_PGM_RSRC2:TGID_X_EN: 1
; COMPUTE_PGM_RSRC2:TGID_Y_EN: 0
; COMPUTE_PGM_RSRC2:TGID_Z_EN: 0
; COMPUTE_PGM_RSRC2:TIDIG_COMP_CNT: 0
; COMPUTE_PGM_RSRC3_GFX90A:ACCUM_OFFSET: 63
; COMPUTE_PGM_RSRC3_GFX90A:TG_SPLIT: 0
	.text
	.p2alignl 6, 3212836864
	.fill 256, 4, 3212836864
	.type	__hip_cuid_6839eb1fb89704a,@object ; @__hip_cuid_6839eb1fb89704a
	.section	.bss,"aw",@nobits
	.globl	__hip_cuid_6839eb1fb89704a
__hip_cuid_6839eb1fb89704a:
	.byte	0                               ; 0x0
	.size	__hip_cuid_6839eb1fb89704a, 1

	.ident	"AMD clang version 19.0.0git (https://github.com/RadeonOpenCompute/llvm-project roc-6.4.0 25133 c7fe45cf4b819c5991fe208aaa96edf142730f1d)"
	.section	".note.GNU-stack","",@progbits
	.addrsig
	.addrsig_sym __hip_cuid_6839eb1fb89704a
	.amdgpu_metadata
---
amdhsa.kernels:
  - .agpr_count:     158
    .args:
      - .actual_access:  read_only
        .address_space:  global
        .offset:         0
        .size:           8
        .value_kind:     global_buffer
      - .actual_access:  read_only
        .address_space:  global
        .offset:         8
        .size:           8
        .value_kind:     global_buffer
      - .actual_access:  read_only
        .address_space:  global
        .offset:         16
        .size:           8
        .value_kind:     global_buffer
      - .actual_access:  read_only
        .address_space:  global
        .offset:         24
        .size:           8
        .value_kind:     global_buffer
      - .actual_access:  read_only
        .address_space:  global
        .offset:         32
        .size:           8
        .value_kind:     global_buffer
      - .offset:         40
        .size:           8
        .value_kind:     by_value
      - .address_space:  global
        .offset:         48
        .size:           8
        .value_kind:     global_buffer
      - .address_space:  global
        .offset:         56
        .size:           8
        .value_kind:     global_buffer
      - .address_space:  global
        .offset:         64
        .size:           8
        .value_kind:     global_buffer
      - .address_space:  global
        .offset:         72
        .size:           8
        .value_kind:     global_buffer
      - .offset:         80
        .size:           4
        .value_kind:     by_value
      - .address_space:  global
        .offset:         88
        .size:           8
        .value_kind:     global_buffer
      - .address_space:  global
        .offset:         96
        .size:           8
        .value_kind:     global_buffer
    .group_segment_fixed_size: 41888
    .kernarg_segment_align: 8
    .kernarg_segment_size: 104
    .language:       OpenCL C
    .language_version:
      - 2
      - 0
    .max_flat_workgroup_size: 238
    .name:           bluestein_single_fwd_len374_dim1_dp_op_CI_CI
    .private_segment_fixed_size: 0
    .sgpr_count:     66
    .sgpr_spill_count: 0
    .symbol:         bluestein_single_fwd_len374_dim1_dp_op_CI_CI.kd
    .uniform_work_group_size: 1
    .uses_dynamic_stack: false
    .vgpr_count:     414
    .vgpr_spill_count: 0
    .wavefront_size: 64
amdhsa.target:   amdgcn-amd-amdhsa--gfx950
amdhsa.version:
  - 1
  - 2
...

	.end_amdgpu_metadata
